;; amdgpu-corpus repo=ROCm/rocFFT kind=compiled arch=gfx1030 opt=O3
	.text
	.amdgcn_target "amdgcn-amd-amdhsa--gfx1030"
	.amdhsa_code_object_version 6
	.protected	fft_rtc_fwd_len1188_factors_6_11_2_3_3_wgs_198_tpt_66_halfLds_half_ip_CI_unitstride_sbrr_R2C_dirReg ; -- Begin function fft_rtc_fwd_len1188_factors_6_11_2_3_3_wgs_198_tpt_66_halfLds_half_ip_CI_unitstride_sbrr_R2C_dirReg
	.globl	fft_rtc_fwd_len1188_factors_6_11_2_3_3_wgs_198_tpt_66_halfLds_half_ip_CI_unitstride_sbrr_R2C_dirReg
	.p2align	8
	.type	fft_rtc_fwd_len1188_factors_6_11_2_3_3_wgs_198_tpt_66_halfLds_half_ip_CI_unitstride_sbrr_R2C_dirReg,@function
fft_rtc_fwd_len1188_factors_6_11_2_3_3_wgs_198_tpt_66_halfLds_half_ip_CI_unitstride_sbrr_R2C_dirReg: ; @fft_rtc_fwd_len1188_factors_6_11_2_3_3_wgs_198_tpt_66_halfLds_half_ip_CI_unitstride_sbrr_R2C_dirReg
; %bb.0:
	s_load_dwordx4 s[8:11], s[4:5], 0x0
	v_mul_u32_u24_e32 v1, 0x3e1, v0
	s_clause 0x1
	s_load_dwordx2 s[2:3], s[4:5], 0x50
	s_load_dwordx2 s[12:13], s[4:5], 0x18
	v_mov_b32_e32 v5, 0
	v_mov_b32_e32 v3, 0
	;; [unrolled: 1-line block ×3, first 2 shown]
	v_lshrrev_b32_e32 v1, 16, v1
	v_mad_u64_u32 v[1:2], null, s6, 3, v[1:2]
	v_mov_b32_e32 v2, v5
	v_mov_b32_e32 v10, v2
	;; [unrolled: 1-line block ×3, first 2 shown]
	s_waitcnt lgkmcnt(0)
	v_cmp_lt_u64_e64 s0, s[10:11], 2
	s_and_b32 vcc_lo, exec_lo, s0
	s_cbranch_vccnz .LBB0_8
; %bb.1:
	s_load_dwordx2 s[0:1], s[4:5], 0x10
	v_mov_b32_e32 v3, 0
	v_mov_b32_e32 v8, v2
	s_add_u32 s6, s12, 8
	v_mov_b32_e32 v4, 0
	v_mov_b32_e32 v7, v1
	s_addc_u32 s7, s13, 0
	s_mov_b64 s[16:17], 1
	s_waitcnt lgkmcnt(0)
	s_add_u32 s14, s0, 8
	s_addc_u32 s15, s1, 0
.LBB0_2:                                ; =>This Inner Loop Header: Depth=1
	s_load_dwordx2 s[18:19], s[14:15], 0x0
                                        ; implicit-def: $vgpr9_vgpr10
	s_mov_b32 s0, exec_lo
	s_waitcnt lgkmcnt(0)
	v_or_b32_e32 v6, s19, v8
	v_cmpx_ne_u64_e32 0, v[5:6]
	s_xor_b32 s1, exec_lo, s0
	s_cbranch_execz .LBB0_4
; %bb.3:                                ;   in Loop: Header=BB0_2 Depth=1
	v_cvt_f32_u32_e32 v2, s18
	v_cvt_f32_u32_e32 v6, s19
	s_sub_u32 s0, 0, s18
	s_subb_u32 s20, 0, s19
	v_fmac_f32_e32 v2, 0x4f800000, v6
	v_rcp_f32_e32 v2, v2
	v_mul_f32_e32 v2, 0x5f7ffffc, v2
	v_mul_f32_e32 v6, 0x2f800000, v2
	v_trunc_f32_e32 v6, v6
	v_fmac_f32_e32 v2, 0xcf800000, v6
	v_cvt_u32_f32_e32 v6, v6
	v_cvt_u32_f32_e32 v2, v2
	v_mul_lo_u32 v9, s0, v6
	v_mul_hi_u32 v10, s0, v2
	v_mul_lo_u32 v11, s20, v2
	v_add_nc_u32_e32 v9, v10, v9
	v_mul_lo_u32 v10, s0, v2
	v_add_nc_u32_e32 v9, v9, v11
	v_mul_hi_u32 v11, v2, v10
	v_mul_lo_u32 v12, v2, v9
	v_mul_hi_u32 v13, v2, v9
	v_mul_hi_u32 v14, v6, v10
	v_mul_lo_u32 v10, v6, v10
	v_mul_hi_u32 v15, v6, v9
	v_mul_lo_u32 v9, v6, v9
	v_add_co_u32 v11, vcc_lo, v11, v12
	v_add_co_ci_u32_e32 v12, vcc_lo, 0, v13, vcc_lo
	v_add_co_u32 v10, vcc_lo, v11, v10
	v_add_co_ci_u32_e32 v10, vcc_lo, v12, v14, vcc_lo
	v_add_co_ci_u32_e32 v11, vcc_lo, 0, v15, vcc_lo
	v_add_co_u32 v9, vcc_lo, v10, v9
	v_add_co_ci_u32_e32 v10, vcc_lo, 0, v11, vcc_lo
	v_add_co_u32 v2, vcc_lo, v2, v9
	v_add_co_ci_u32_e32 v6, vcc_lo, v6, v10, vcc_lo
	v_mul_hi_u32 v9, s0, v2
	v_mul_lo_u32 v11, s20, v2
	v_mul_lo_u32 v10, s0, v6
	v_add_nc_u32_e32 v9, v9, v10
	v_mul_lo_u32 v10, s0, v2
	v_add_nc_u32_e32 v9, v9, v11
	v_mul_hi_u32 v11, v2, v10
	v_mul_lo_u32 v12, v2, v9
	v_mul_hi_u32 v13, v2, v9
	v_mul_hi_u32 v14, v6, v10
	v_mul_lo_u32 v10, v6, v10
	v_mul_hi_u32 v15, v6, v9
	v_mul_lo_u32 v9, v6, v9
	v_add_co_u32 v11, vcc_lo, v11, v12
	v_add_co_ci_u32_e32 v12, vcc_lo, 0, v13, vcc_lo
	v_add_co_u32 v10, vcc_lo, v11, v10
	v_add_co_ci_u32_e32 v10, vcc_lo, v12, v14, vcc_lo
	v_add_co_ci_u32_e32 v11, vcc_lo, 0, v15, vcc_lo
	v_add_co_u32 v9, vcc_lo, v10, v9
	v_add_co_ci_u32_e32 v10, vcc_lo, 0, v11, vcc_lo
	v_add_co_u32 v2, vcc_lo, v2, v9
	v_add_co_ci_u32_e32 v6, vcc_lo, v6, v10, vcc_lo
	v_mul_hi_u32 v15, v7, v2
	v_mad_u64_u32 v[11:12], null, v8, v2, 0
	v_mad_u64_u32 v[9:10], null, v7, v6, 0
	v_mad_u64_u32 v[13:14], null, v8, v6, 0
	v_add_co_u32 v2, vcc_lo, v15, v9
	v_add_co_ci_u32_e32 v6, vcc_lo, 0, v10, vcc_lo
	v_add_co_u32 v2, vcc_lo, v2, v11
	v_add_co_ci_u32_e32 v2, vcc_lo, v6, v12, vcc_lo
	v_add_co_ci_u32_e32 v6, vcc_lo, 0, v14, vcc_lo
	v_add_co_u32 v2, vcc_lo, v2, v13
	v_add_co_ci_u32_e32 v6, vcc_lo, 0, v6, vcc_lo
	v_mul_lo_u32 v11, s19, v2
	v_mad_u64_u32 v[9:10], null, s18, v2, 0
	v_mul_lo_u32 v12, s18, v6
	v_sub_co_u32 v9, vcc_lo, v7, v9
	v_add3_u32 v10, v10, v12, v11
	v_sub_nc_u32_e32 v11, v8, v10
	v_subrev_co_ci_u32_e64 v11, s0, s19, v11, vcc_lo
	v_add_co_u32 v12, s0, v2, 2
	v_add_co_ci_u32_e64 v13, s0, 0, v6, s0
	v_sub_co_u32 v14, s0, v9, s18
	v_sub_co_ci_u32_e32 v10, vcc_lo, v8, v10, vcc_lo
	v_subrev_co_ci_u32_e64 v11, s0, 0, v11, s0
	v_cmp_le_u32_e32 vcc_lo, s18, v14
	v_cmp_eq_u32_e64 s0, s19, v10
	v_cndmask_b32_e64 v14, 0, -1, vcc_lo
	v_cmp_le_u32_e32 vcc_lo, s19, v11
	v_cndmask_b32_e64 v15, 0, -1, vcc_lo
	v_cmp_le_u32_e32 vcc_lo, s18, v9
	;; [unrolled: 2-line block ×3, first 2 shown]
	v_cndmask_b32_e64 v16, 0, -1, vcc_lo
	v_cmp_eq_u32_e32 vcc_lo, s19, v11
	v_cndmask_b32_e64 v9, v16, v9, s0
	v_cndmask_b32_e32 v11, v15, v14, vcc_lo
	v_add_co_u32 v14, vcc_lo, v2, 1
	v_add_co_ci_u32_e32 v15, vcc_lo, 0, v6, vcc_lo
	v_cmp_ne_u32_e32 vcc_lo, 0, v11
	v_cndmask_b32_e32 v10, v15, v13, vcc_lo
	v_cndmask_b32_e32 v11, v14, v12, vcc_lo
	v_cmp_ne_u32_e32 vcc_lo, 0, v9
	v_cndmask_b32_e32 v10, v6, v10, vcc_lo
	v_cndmask_b32_e32 v9, v2, v11, vcc_lo
.LBB0_4:                                ;   in Loop: Header=BB0_2 Depth=1
	s_andn2_saveexec_b32 s0, s1
	s_cbranch_execz .LBB0_6
; %bb.5:                                ;   in Loop: Header=BB0_2 Depth=1
	v_cvt_f32_u32_e32 v2, s18
	s_sub_i32 s1, 0, s18
	v_rcp_iflag_f32_e32 v2, v2
	v_mul_f32_e32 v2, 0x4f7ffffe, v2
	v_cvt_u32_f32_e32 v2, v2
	v_mul_lo_u32 v6, s1, v2
	v_mul_hi_u32 v6, v2, v6
	v_add_nc_u32_e32 v2, v2, v6
	v_mul_hi_u32 v2, v7, v2
	v_mul_lo_u32 v6, v2, s18
	v_add_nc_u32_e32 v9, 1, v2
	v_sub_nc_u32_e32 v6, v7, v6
	v_subrev_nc_u32_e32 v10, s18, v6
	v_cmp_le_u32_e32 vcc_lo, s18, v6
	v_cndmask_b32_e32 v6, v6, v10, vcc_lo
	v_cndmask_b32_e32 v2, v2, v9, vcc_lo
	v_mov_b32_e32 v10, v5
	v_cmp_le_u32_e32 vcc_lo, s18, v6
	v_add_nc_u32_e32 v9, 1, v2
	v_cndmask_b32_e32 v9, v2, v9, vcc_lo
.LBB0_6:                                ;   in Loop: Header=BB0_2 Depth=1
	s_or_b32 exec_lo, exec_lo, s0
	s_load_dwordx2 s[0:1], s[6:7], 0x0
	v_mul_lo_u32 v2, v10, s18
	v_mul_lo_u32 v6, v9, s19
	v_mad_u64_u32 v[11:12], null, v9, s18, 0
	s_add_u32 s16, s16, 1
	s_addc_u32 s17, s17, 0
	s_add_u32 s6, s6, 8
	s_addc_u32 s7, s7, 0
	;; [unrolled: 2-line block ×3, first 2 shown]
	v_add3_u32 v2, v12, v6, v2
	v_sub_co_u32 v6, vcc_lo, v7, v11
	v_sub_co_ci_u32_e32 v2, vcc_lo, v8, v2, vcc_lo
	s_waitcnt lgkmcnt(0)
	v_mul_lo_u32 v7, s1, v6
	v_mul_lo_u32 v2, s0, v2
	v_mad_u64_u32 v[3:4], null, s0, v6, v[3:4]
	v_cmp_ge_u64_e64 s0, s[16:17], s[10:11]
	s_and_b32 vcc_lo, exec_lo, s0
	v_add3_u32 v4, v7, v4, v2
	s_cbranch_vccnz .LBB0_8
; %bb.7:                                ;   in Loop: Header=BB0_2 Depth=1
	v_mov_b32_e32 v7, v9
	v_mov_b32_e32 v8, v10
	s_branch .LBB0_2
.LBB0_8:
	s_lshl_b64 s[0:1], s[10:11], 3
	v_mul_hi_u32 v2, 0xaaaaaaab, v1
	s_add_u32 s0, s12, s0
	s_addc_u32 s1, s13, s1
	s_load_dwordx2 s[4:5], s[4:5], 0x20
	s_load_dwordx2 s[0:1], s[0:1], 0x0
	v_mul_hi_u32 v5, 0x3e0f83f, v0
	v_lshrrev_b32_e32 v2, 1, v2
	v_mul_u32_u24_e32 v5, 0x42, v5
	v_lshl_add_u32 v6, v2, 1, v2
	v_sub_nc_u32_e32 v8, v0, v5
	v_sub_nc_u32_e32 v0, v1, v6
	s_waitcnt lgkmcnt(0)
	v_cmp_gt_u64_e32 vcc_lo, s[4:5], v[9:10]
	v_mul_lo_u32 v7, s0, v10
	v_mul_lo_u32 v11, s1, v9
	v_mad_u64_u32 v[2:3], null, s0, v9, v[3:4]
	v_cmp_le_u64_e64 s0, s[4:5], v[9:10]
	v_add_nc_u32_e32 v14, 0x42, v8
	v_add_nc_u32_e32 v12, 0x84, v8
	v_add3_u32 v3, v11, v3, v7
	s_and_saveexec_b32 s1, s0
	s_xor_b32 s0, exec_lo, s1
; %bb.9:
	v_add_nc_u32_e32 v14, 0x42, v8
	v_add_nc_u32_e32 v12, 0x84, v8
; %bb.10:
	s_or_saveexec_b32 s1, s0
	v_mul_u32_u24_e32 v0, 0x4a5, v0
	v_lshlrev_b64 v[10:11], 2, v[2:3]
	v_lshlrev_b32_e32 v13, 2, v8
	v_lshlrev_b32_e32 v40, 2, v0
	s_xor_b32 exec_lo, exec_lo, s1
	s_cbranch_execz .LBB0_12
; %bb.11:
	v_mov_b32_e32 v9, 0
	v_add_co_u32 v2, s0, s2, v10
	v_add_co_ci_u32_e64 v3, s0, s3, v11, s0
	v_lshlrev_b64 v[0:1], 2, v[8:9]
	v_add_co_u32 v0, s0, v2, v0
	v_add_co_ci_u32_e64 v1, s0, v3, v1, s0
	s_clause 0x7
	global_load_dword v4, v[0:1], off
	global_load_dword v5, v[0:1], off offset:264
	global_load_dword v6, v[0:1], off offset:528
	;; [unrolled: 1-line block ×7, first 2 shown]
	v_add_co_u32 v2, s0, 0x800, v0
	v_add_co_ci_u32_e64 v3, s0, 0, v1, s0
	v_add_co_u32 v0, s0, 0x1000, v0
	v_add_co_ci_u32_e64 v1, s0, 0, v1, s0
	s_clause 0x9
	global_load_dword v18, v[2:3], off offset:64
	global_load_dword v19, v[2:3], off offset:328
	;; [unrolled: 1-line block ×10, first 2 shown]
	v_add3_u32 v1, 0, v40, v13
	v_add_nc_u32_e32 v25, 0x400, v1
	v_add_nc_u32_e32 v26, 0x800, v1
	;; [unrolled: 1-line block ×4, first 2 shown]
	s_waitcnt vmcnt(16)
	ds_write2_b32 v1, v4, v5 offset1:66
	s_waitcnt vmcnt(14)
	ds_write2_b32 v1, v6, v7 offset0:132 offset1:198
	s_waitcnt vmcnt(12)
	ds_write2_b32 v25, v9, v15 offset0:8 offset1:74
	;; [unrolled: 2-line block ×8, first 2 shown]
.LBB0_12:
	s_or_b32 exec_lo, exec_lo, s1
	v_add_nc_u32_e32 v0, 0, v13
	s_waitcnt lgkmcnt(0)
	s_barrier
	buffer_gl0_inv
	v_add_nc_u32_e32 v38, 0, v40
	v_add_nc_u32_e32 v39, v0, v40
	v_mul_u32_u24_e32 v15, 6, v8
	v_mov_b32_e32 v18, 0x3800
	v_mov_b32_e32 v19, 0xbaee
	v_add_nc_u32_e32 v37, v38, v13
	v_add_nc_u32_e32 v0, 0x400, v39
	;; [unrolled: 1-line block ×5, first 2 shown]
	ds_read2_b32 v[4:5], v39 offset0:66 offset1:132
	ds_read2_b32 v[6:7], v0 offset0:74 offset1:140
	;; [unrolled: 1-line block ×5, first 2 shown]
	ds_read_b32 v9, v39 offset:4488
	v_add_nc_u32_e32 v3, 0x200, v39
	v_add_nc_u32_e32 v36, 0xe00, v39
	;; [unrolled: 1-line block ×3, first 2 shown]
	ds_read2_b32 v[24:25], v3 offset0:70 offset1:136
	ds_read2_b32 v[26:27], v2 offset0:82 offset1:148
	;; [unrolled: 1-line block ×3, first 2 shown]
	v_lshl_add_u32 v31, v15, 2, v38
	ds_read_b32 v32, v37
	v_mul_i32_i24_e32 v30, 6, v14
	s_waitcnt lgkmcnt(0)
	s_barrier
	buffer_gl0_inv
	v_cmp_gt_u32_e64 s0, 42, v8
                                        ; implicit-def: $vgpr49
                                        ; implicit-def: $vgpr48
                                        ; implicit-def: $vgpr47
	v_pk_add_f16 v33, v6, v20
	v_pk_add_f16 v15, v5, v17
	;; [unrolled: 1-line block ×3, first 2 shown]
	v_pk_add_f16 v20, v20, v9 neg_lo:[0,1] neg_hi:[0,1]
	v_pk_add_f16 v34, v17, v23
	v_pk_add_f16 v17, v17, v23 neg_lo:[0,1] neg_hi:[0,1]
	v_pk_add_f16 v9, v33, v9
	v_pk_fma_f16 v6, v41, 0.5, v6 op_sel_hi:[1,0,1] neg_lo:[1,0,0] neg_hi:[1,0,0]
	v_pk_add_f16 v42, v4, v16
	v_pk_fma_f16 v5, v34, 0.5, v5 op_sel_hi:[1,0,1] neg_lo:[1,0,0] neg_hi:[1,0,0]
	v_pk_mul_f16 v17, 0x3aee, v17 op_sel_hi:[0,1]
	v_pk_add_f16 v23, v15, v23
	v_pk_fma_f16 v33, 0x3aee, v20, v6 op_sel:[0,0,1] op_sel_hi:[0,1,0] neg_lo:[0,1,0] neg_hi:[0,1,0]
	v_pk_fma_f16 v6, 0x3aee, v20, v6 op_sel:[0,0,1] op_sel_hi:[0,1,0]
	v_pk_add_f16 v34, v42, v22
	v_pk_add_f16 v42, v5, v17 op_sel:[0,1] op_sel_hi:[1,0] neg_lo:[0,1] neg_hi:[0,1]
	v_pk_add_f16 v5, v5, v17 op_sel:[0,1] op_sel_hi:[1,0]
	v_mul_f16_sdwa v18, v33, v18 dst_sel:DWORD dst_unused:UNUSED_PAD src0_sel:WORD_1 src1_sel:DWORD
	v_pk_mul_f16 v20, v6, 0.5 op_sel_hi:[1,0]
	v_mul_f16_sdwa v43, v6, v19 dst_sel:DWORD dst_unused:UNUSED_PAD src0_sel:WORD_1 src1_sel:DWORD
	v_pk_add_f16 v41, v26, v28
	v_pk_add_f16 v15, v23, v9
	v_fma_f16 v6, v6, 0x3aee, -v18
	v_pk_fma_f16 v17, 0xbaee3aee, v33, v20 op_sel:[0,0,1] op_sel_hi:[1,1,0]
	v_pk_fma_f16 v18, 0xbaee3aee, v33, v20 op_sel:[0,0,1] op_sel_hi:[1,1,0] neg_lo:[0,0,1] neg_hi:[0,0,1]
	v_pk_add_f16 v20, v23, v9 neg_lo:[0,1] neg_hi:[0,1]
	v_bfi_b32 v9, 0xffff, v42, v5
	v_add_f16_e32 v19, v42, v6
	v_fmac_f16_e32 v43, 0.5, v33
	v_bfi_b32 v23, 0xffff, v17, v18
	v_bfi_b32 v6, 0xffff, v6, v18
	v_pk_add_f16 v46, v25, v27
	v_sub_f16_e32 v17, v5, v17
	v_add_f16_sdwa v44, v42, v43 dst_sel:DWORD dst_unused:UNUSED_PAD src0_sel:WORD_1 src1_sel:DWORD
	v_pk_add_f16 v45, v5, v23
	v_pk_add_f16 v18, v9, v6 neg_lo:[0,1] neg_hi:[0,1]
	v_lshl_add_u32 v6, v30, 2, v38
	v_pk_fma_f16 v23, v41, 0.5, v24 op_sel_hi:[1,0,1] neg_lo:[1,0,0] neg_hi:[1,0,0]
	v_pk_add_f16 v30, v26, v28 neg_lo:[0,1] neg_hi:[0,1]
	v_pk_add_f16 v9, v32, v7
	v_pk_add_f16 v24, v24, v26
	;; [unrolled: 1-line block ×3, first 2 shown]
	v_pk_add_f16 v7, v7, v21 neg_lo:[0,1] neg_hi:[0,1]
	v_pk_fma_f16 v41, 0x3aee, v30, v23 op_sel:[0,0,1] op_sel_hi:[0,1,0]
	v_pk_add_f16 v9, v9, v21
	v_pk_add_f16 v21, v24, v28
	v_pk_fma_f16 v23, 0x3aee, v30, v23 op_sel:[0,0,1] op_sel_hi:[0,1,0] neg_lo:[0,1,0] neg_hi:[0,1,0]
	v_pk_fma_f16 v24, v26, 0.5, v32 op_sel_hi:[1,0,1] neg_lo:[1,0,0] neg_hi:[1,0,0]
	v_lshrrev_b32_e32 v26, 16, v41
	v_pk_mul_f16 v7, 0x3aee, v7 op_sel_hi:[0,1]
	v_sub_f16_sdwa v43, v42, v43 dst_sel:DWORD dst_unused:UNUSED_PAD src0_sel:WORD_1 src1_sel:DWORD
	v_mul_f16_e32 v30, 0x3aee, v23
	v_bfi_b32 v32, 0xffff, v41, v23
	v_mul_f16_e32 v41, 0xbaee, v26
	v_pk_add_f16 v42, v24, v7 op_sel:[0,1] op_sel_hi:[1,0]
	v_pk_add_f16 v7, v24, v7 op_sel:[0,1] op_sel_hi:[1,0] neg_lo:[0,1] neg_hi:[0,1]
	v_fmac_f16_e32 v30, 0.5, v26
	v_pk_mul_f16 v24, v32, 0.5 op_sel_hi:[1,0]
	v_fmac_f16_e32 v41, 0.5, v23
	v_pk_add_f16 v5, v46, v29
	v_pk_add_f16 v46, v27, v29
	v_add_f16_e32 v26, v42, v30
	v_pk_fma_f16 v24, 0xbaee3aee, v32, v24 op_sel:[0,0,1] op_sel_hi:[1,1,0] neg_lo:[0,0,1] neg_hi:[0,0,1]
	v_add_f16_sdwa v32, v7, v41 dst_sel:DWORD dst_unused:UNUSED_PAD src0_sel:WORD_1 src1_sel:DWORD
	v_pk_add_f16 v28, v9, v21
	v_bfi_b32 v23, 0xffff, v7, v42
	v_pk_fma_f16 v25, v46, 0.5, v25 op_sel_hi:[1,0,1] neg_lo:[1,0,0] neg_hi:[1,0,0]
	v_pk_add_f16 v27, v27, v29 neg_lo:[0,1] neg_hi:[0,1]
	v_pack_b32_f16 v26, v26, v32
	v_sub_f16_sdwa v32, v42, v24 dst_sel:DWORD dst_unused:UNUSED_PAD src0_sel:WORD_1 src1_sel:WORD_1
	v_pk_add_f16 v23, v23, v24
	v_pk_add_f16 v9, v9, v21 neg_lo:[0,1] neg_hi:[0,1]
	v_pack_b32_f16 v21, v41, v24
	ds_write2_b32 v31, v28, v26 offset1:1
	v_pk_add_f16 v24, v16, v22
	v_pk_fma_f16 v26, 0x3aee, v27, v25 op_sel:[0,0,1] op_sel_hi:[0,1,0]
	v_pk_add_f16 v16, v16, v22 neg_lo:[0,1] neg_hi:[0,1]
	v_pk_fma_f16 v22, 0x3aee, v27, v25 op_sel:[0,0,1] op_sel_hi:[0,1,0] neg_lo:[0,1,0] neg_hi:[0,1,0]
	v_pk_add_f16 v7, v7, v21 op_sel:[1,0] op_sel_hi:[0,1] neg_lo:[0,1] neg_hi:[0,1]
	v_pk_fma_f16 v4, v24, 0.5, v4 op_sel_hi:[1,0,1] neg_lo:[1,0,0] neg_hi:[1,0,0]
	v_lshrrev_b32_e32 v21, 16, v26
	v_pk_mul_f16 v16, 0x3aee, v16 op_sel_hi:[0,1]
	v_bfi_b32 v24, 0xffff, v26, v22
	v_mul_f16_e32 v26, 0x3aee, v22
	v_sub_f16_e32 v30, v42, v30
	v_mul_f16_e32 v27, 0xbaee, v21
	v_pk_add_f16 v28, v4, v16 op_sel:[0,1] op_sel_hi:[1,0]
	v_pk_mul_f16 v29, v24, 0.5 op_sel_hi:[1,0]
	v_pk_add_f16 v4, v4, v16 op_sel:[0,1] op_sel_hi:[1,0] neg_lo:[0,1] neg_hi:[0,1]
	v_fmac_f16_e32 v26, 0.5, v21
	v_fmac_f16_e32 v27, 0.5, v22
	v_alignbit_b32 v25, v32, v7, 16
	v_pk_fma_f16 v16, 0xbaee3aee, v24, v29 op_sel:[0,0,1] op_sel_hi:[1,1,0] neg_lo:[0,0,1] neg_hi:[0,0,1]
	v_pack_b32_f16 v7, v30, v7
	v_bfi_b32 v21, 0xffff, v4, v28
	v_add_f16_e32 v22, v28, v26
	v_add_f16_sdwa v24, v4, v27 dst_sel:DWORD dst_unused:UNUSED_PAD src0_sel:WORD_1 src1_sel:DWORD
	ds_write2_b32 v31, v23, v9 offset0:2 offset1:3
	v_pack_b32_f16 v23, v27, v16
	v_pk_add_f16 v33, v34, v5
	ds_write2_b32 v31, v7, v25 offset0:4 offset1:5
	v_pk_add_f16 v7, v21, v16
	v_pack_b32_f16 v21, v22, v24
	v_sub_f16_sdwa v9, v28, v16 dst_sel:DWORD dst_unused:UNUSED_PAD src0_sel:WORD_1 src1_sel:WORD_1
	v_pk_add_f16 v4, v4, v23 op_sel:[1,0] op_sel_hi:[0,1] neg_lo:[0,1] neg_hi:[0,1]
	v_sub_f16_e32 v16, v28, v26
	v_mul_i32_i24_e32 v22, 6, v12
	v_pk_add_f16 v5, v34, v5 neg_lo:[0,1] neg_hi:[0,1]
	ds_write2_b32 v6, v33, v21 offset1:1
	v_alignbit_b32 v21, v9, v4, 16
	v_pack_b32_f16 v16, v16, v4
	v_lshl_add_u32 v22, v22, 2, v38
	v_pack_b32_f16 v23, v45, v44
	v_bfi_b32 v24, 0xffff, v19, v45
	v_pack_b32_f16 v25, v17, v43
	ds_write2_b32 v6, v7, v5 offset0:2 offset1:3
	ds_write2_b32 v6, v16, v21 offset0:4 offset1:5
	ds_write2_b32 v22, v15, v23 offset1:1
	ds_write2_b32 v22, v24, v20 offset0:2 offset1:3
	ds_write2_b32 v22, v25, v18 offset0:4 offset1:5
	s_waitcnt lgkmcnt(0)
	s_barrier
	buffer_gl0_inv
	ds_read_b32 v50, v37
	ds_read2_b32 v[33:34], v39 offset0:108 offset1:216
	ds_read2_b32 v[31:32], v0 offset0:68 offset1:176
	;; [unrolled: 1-line block ×5, first 2 shown]
	v_lshrrev_b32_e32 v42, 16, v4
	v_lshlrev_b32_e32 v41, 2, v14
                                        ; implicit-def: $vgpr24
                                        ; implicit-def: $vgpr22
                                        ; implicit-def: $vgpr46
	s_and_saveexec_b32 s1, s0
	s_cbranch_execz .LBB0_14
; %bb.13:
	v_add3_u32 v4, 0, v41, v40
	ds_read2_b32 v[15:16], v3 offset0:46 offset1:154
	v_add_nc_u32_e32 v3, 0x1000, v39
	ds_read2_b32 v[17:18], v2 offset0:94 offset1:202
	ds_read2_b32 v[21:22], v1 offset0:54 offset1:162
	ds_read_b32 v42, v4
	ds_read2_b32 v[23:24], v3 offset0:14 offset1:122
	ds_read2_b32 v[19:20], v0 offset0:134 offset1:242
	s_waitcnt lgkmcnt(4)
	v_lshrrev_b32_e32 v43, 16, v17
	v_lshrrev_b32_e32 v44, 16, v16
	s_waitcnt lgkmcnt(3)
	v_lshrrev_b32_e32 v46, 16, v21
	v_lshrrev_b32_e32 v47, 16, v22
	s_waitcnt lgkmcnt(2)
	v_lshrrev_b32_e32 v9, 16, v42
	s_waitcnt lgkmcnt(1)
	v_lshrrev_b32_e32 v48, 16, v23
	v_lshrrev_b32_e32 v49, 16, v24
	s_waitcnt lgkmcnt(0)
	v_bfi_b32 v45, 0xffff, v16, v19
.LBB0_14:
	s_or_b32 exec_lo, exec_lo, s1
	v_and_b32_e32 v0, 0xff, v8
	v_mov_b32_e32 v51, 10
	s_waitcnt lgkmcnt(4)
	v_lshrrev_b32_e32 v54, 16, v33
	s_waitcnt lgkmcnt(0)
	v_lshrrev_b32_e32 v52, 16, v27
	v_lshrrev_b32_e32 v57, 16, v34
	v_mul_lo_u16 v0, 0xab, v0
	v_lshrrev_b32_e32 v58, 16, v31
	v_lshrrev_b32_e32 v59, 16, v32
	;; [unrolled: 1-line block ×4, first 2 shown]
	v_lshrrev_b16 v16, 10, v0
	v_lshrrev_b32_e32 v62, 16, v25
	v_lshrrev_b32_e32 v63, 16, v26
	;; [unrolled: 1-line block ×3, first 2 shown]
	v_mul_lo_u16 v0, v16, 6
	v_and_b32_e32 v56, 0xffff, v16
	v_mov_b32_e32 v16, 2
	v_sub_nc_u16 v55, v8, v0
	v_mad_u32_u24 v56, 0x108, v56, 0
	v_mul_u32_u24_sdwa v0, v55, v51 dst_sel:DWORD dst_unused:UNUSED_PAD src0_sel:BYTE_0 src1_sel:DWORD
	v_lshlrev_b32_sdwa v55, v16, v55 dst_sel:DWORD dst_unused:UNUSED_PAD src0_sel:DWORD src1_sel:BYTE_0
	v_lshlrev_b32_e32 v35, 2, v0
	v_add3_u32 v55, v56, v55, v40
	s_clause 0x2
	global_load_dwordx4 v[0:3], v35, s[8:9]
	global_load_dwordx4 v[4:7], v35, s[8:9] offset:16
	global_load_dwordx2 v[35:36], v35, s[8:9] offset:32
	s_waitcnt vmcnt(0)
	s_barrier
	buffer_gl0_inv
	v_mul_f16_sdwa v56, v0, v54 dst_sel:DWORD dst_unused:UNUSED_PAD src0_sel:WORD_1 src1_sel:DWORD
	v_mul_f16_sdwa v64, v0, v33 dst_sel:DWORD dst_unused:UNUSED_PAD src0_sel:WORD_1 src1_sel:DWORD
	;; [unrolled: 1-line block ×16, first 2 shown]
	v_mul_f16_sdwa v79, v52, v35 dst_sel:DWORD dst_unused:UNUSED_PAD src0_sel:DWORD src1_sel:WORD_1
	v_fma_f16 v33, v0, v33, -v56
	v_fmac_f16_e32 v64, v0, v54
	v_mul_f16_sdwa v81, v53, v36 dst_sel:DWORD dst_unused:UNUSED_PAD src0_sel:DWORD src1_sel:WORD_1
	v_mul_f16_sdwa v82, v28, v36 dst_sel:DWORD dst_unused:UNUSED_PAD src0_sel:DWORD src1_sel:WORD_1
	v_mul_f16_sdwa v80, v27, v35 dst_sel:DWORD dst_unused:UNUSED_PAD src0_sel:DWORD src1_sel:WORD_1
	v_fma_f16 v0, v1, v34, -v65
	v_fmac_f16_e32 v66, v1, v57
	v_fma_f16 v1, v2, v31, -v67
	v_fmac_f16_e32 v68, v2, v58
	;; [unrolled: 2-line block ×7, first 2 shown]
	v_fma_f16 v7, v27, v35, -v79
	v_add_f16_e32 v26, v33, v50
	v_add_f16_sdwa v27, v64, v50 dst_sel:DWORD dst_unused:UNUSED_PAD src0_sel:DWORD src1_sel:WORD_1
	v_fma_f16 v25, v28, v36, -v81
	v_fmac_f16_e32 v82, v53, v36
	v_add_f16_e32 v32, v0, v7
	v_sub_f16_e32 v34, v0, v7
	v_add_f16_e32 v0, v26, v0
	v_add_f16_e32 v26, v27, v66
	v_fmac_f16_e32 v80, v52, v35
	v_sub_f16_e32 v30, v33, v25
	v_sub_f16_e32 v31, v64, v82
	v_add_f16_e32 v52, v1, v6
	v_sub_f16_e32 v53, v1, v6
	v_add_f16_e32 v0, v0, v1
	v_add_f16_e32 v1, v26, v68
	;; [unrolled: 1-line block ×5, first 2 shown]
	v_sub_f16_e32 v35, v66, v80
	v_sub_f16_e32 v36, v68, v78
	;; [unrolled: 1-line block ×6, first 2 shown]
	v_mul_f16_e32 v27, 0xb853, v31
	v_mul_f16_e32 v64, 0xb853, v30
	;; [unrolled: 1-line block ×10, first 2 shown]
	v_add_f16_e32 v0, v0, v2
	v_add_f16_e32 v1, v1, v70
	;; [unrolled: 1-line block ×7, first 2 shown]
	v_mul_f16_e32 v75, 0xbb47, v35
	v_mul_f16_e32 v77, 0xbb47, v34
	;; [unrolled: 1-line block ×40, first 2 shown]
	v_fma_f16 v111, v28, 0x3abb, -v27
	v_fmamk_f16 v112, v29, 0x3abb, v64
	v_fmac_f16_e32 v27, 0x3abb, v28
	v_fma_f16 v64, v29, 0x3abb, -v64
	v_fma_f16 v113, v28, 0x36a6, -v65
	v_fmamk_f16 v114, v29, 0x36a6, v66
	v_fmac_f16_e32 v65, 0x36a6, v28
	v_fma_f16 v66, v29, 0x36a6, -v66
	;; [unrolled: 4-line block ×5, first 2 shown]
	v_add_f16_e32 v0, v0, v3
	v_add_f16_e32 v1, v1, v72
	v_fma_f16 v29, v32, 0x36a6, -v75
	v_fmac_f16_e32 v75, 0x36a6, v32
	v_fma_f16 v30, v32, 0xb93d, -v79
	v_fmac_f16_e32 v79, 0xb93d, v32
	v_fma_f16 v121, v32, 0xbbad, -v83
	v_fmac_f16_e32 v83, 0xbbad, v32
	v_fma_f16 v122, v32, 0xb08e, -v84
	v_fmac_f16_e32 v84, 0xb08e, v32
	v_fma_f16 v123, v32, 0x3abb, -v35
	v_fmac_f16_e32 v35, 0x3abb, v32
	v_fmamk_f16 v32, v33, 0x36a6, v77
	v_fma_f16 v77, v33, 0x36a6, -v77
	v_fmamk_f16 v124, v33, 0xb93d, v81
	v_fma_f16 v81, v33, 0xb93d, -v81
	v_fmamk_f16 v125, v33, 0xbbad, v85
	v_fma_f16 v85, v33, 0xbbad, -v85
	v_fmamk_f16 v126, v33, 0xb08e, v86
	v_fma_f16 v86, v33, 0xb08e, -v86
	v_fmamk_f16 v127, v33, 0x3abb, v34
	v_fma_f16 v33, v33, 0x3abb, -v34
	v_fma_f16 v34, v52, 0xb08e, -v87
	v_fmac_f16_e32 v87, 0xb08e, v52
	v_fma_f16 v128, v52, 0xbbad, -v88
	v_fmac_f16_e32 v88, 0xbbad, v52
	v_fma_f16 v129, v52, 0x36a6, -v89
	v_fmac_f16_e32 v89, 0x36a6, v52
	v_fma_f16 v130, v52, 0x3abb, -v90
	v_fmac_f16_e32 v90, 0x3abb, v52
	v_fma_f16 v131, v52, 0xb93d, -v36
	v_fmac_f16_e32 v36, 0xb93d, v52
	v_fmamk_f16 v26, v54, 0xb08e, v91
	v_fma_f16 v52, v54, 0xb08e, -v91
	v_fmamk_f16 v68, v54, 0xbbad, v92
	v_fma_f16 v91, v54, 0xbbad, -v92
	v_fmamk_f16 v92, v54, 0x36a6, v93
	v_fma_f16 v93, v54, 0x36a6, -v93
	v_fmamk_f16 v132, v54, 0x3abb, v94
	v_fma_f16 v94, v54, 0x3abb, -v94
	v_fmamk_f16 v133, v54, 0xb93d, v53
	v_fma_f16 v53, v54, 0xb93d, -v53
	;; [unrolled: 20-line block ×4, first 2 shown]
	v_add_f16_e32 v2, v111, v50
	v_add_f16_sdwa v63, v112, v50 dst_sel:DWORD dst_unused:UNUSED_PAD src0_sel:DWORD src1_sel:WORD_1
	v_add_f16_e32 v27, v27, v50
	v_add_f16_sdwa v64, v64, v50 dst_sel:DWORD dst_unused:UNUSED_PAD src0_sel:DWORD src1_sel:WORD_1
	;; [unrolled: 2-line block ×10, first 2 shown]
	v_add_f16_e32 v0, v0, v4
	v_add_f16_e32 v1, v1, v74
	;; [unrolled: 1-line block ×90, first 2 shown]
	v_pack_b32_f16 v2, v2, v3
	v_pack_b32_f16 v3, v6, v26
	;; [unrolled: 1-line block ×11, first 2 shown]
	ds_write2_b32 v55, v3, v6 offset0:12 offset1:18
	ds_write2_b32 v55, v7, v26 offset0:24 offset1:30
	;; [unrolled: 1-line block ×4, first 2 shown]
	ds_write2_b32 v55, v0, v2 offset1:6
	ds_write_b32 v55, v4 offset:240
	s_and_saveexec_b32 s1, s0
	s_cbranch_execz .LBB0_16
; %bb.15:
	v_and_b32_e32 v0, 0xff, v14
	v_lshrrev_b32_e32 v29, 16, v15
	v_lshrrev_b32_e32 v32, 16, v18
	;; [unrolled: 1-line block ×4, first 2 shown]
	v_mul_lo_u16 v0, 0xab, v0
	v_lshrrev_b16 v27, 10, v0
	v_mul_lo_u16 v0, v27, 6
	v_and_b32_e32 v27, 0xffff, v27
	v_sub_nc_u16 v28, v14, v0
	v_mad_u32_u24 v27, 0x108, v27, 0
	v_mul_u32_u24_sdwa v0, v28, v51 dst_sel:DWORD dst_unused:UNUSED_PAD src0_sel:BYTE_0 src1_sel:DWORD
	v_lshlrev_b32_sdwa v28, v16, v28 dst_sel:DWORD dst_unused:UNUSED_PAD src0_sel:DWORD src1_sel:BYTE_0
	v_lshlrev_b32_e32 v4, 2, v0
	v_add3_u32 v27, v27, v28, v40
	s_clause 0x2
	global_load_dwordx2 v[25:26], v4, s[8:9] offset:32
	global_load_dwordx4 v[0:3], v4, s[8:9]
	global_load_dwordx4 v[4:7], v4, s[8:9] offset:16
	s_waitcnt vmcnt(2)
	v_mul_f16_sdwa v28, v24, v26 dst_sel:DWORD dst_unused:UNUSED_PAD src0_sel:DWORD src1_sel:WORD_1
	s_waitcnt vmcnt(1)
	v_mul_f16_sdwa v33, v15, v0 dst_sel:DWORD dst_unused:UNUSED_PAD src0_sel:DWORD src1_sel:WORD_1
	v_mul_f16_sdwa v34, v29, v0 dst_sel:DWORD dst_unused:UNUSED_PAD src0_sel:DWORD src1_sel:WORD_1
	;; [unrolled: 1-line block ×8, first 2 shown]
	s_waitcnt vmcnt(0)
	v_mul_f16_sdwa v61, v18, v5 dst_sel:DWORD dst_unused:UNUSED_PAD src0_sel:DWORD src1_sel:WORD_1
	v_mul_f16_sdwa v62, v17, v4 dst_sel:DWORD dst_unused:UNUSED_PAD src0_sel:DWORD src1_sel:WORD_1
	;; [unrolled: 1-line block ×4, first 2 shown]
	v_fmac_f16_e32 v28, v49, v26
	v_fmac_f16_e32 v33, v29, v0
	v_fma_f16 v0, v15, v0, -v34
	v_fma_f16 v15, v24, v26, -v35
	v_mul_f16_sdwa v36, v23, v25 dst_sel:DWORD dst_unused:UNUSED_PAD src0_sel:DWORD src1_sel:WORD_1
	v_mul_f16_sdwa v53, v22, v7 dst_sel:DWORD dst_unused:UNUSED_PAD src0_sel:DWORD src1_sel:WORD_1
	;; [unrolled: 1-line block ×7, first 2 shown]
	v_fmac_f16_e32 v50, v44, v1
	v_fma_f16 v1, v45, v1, -v51
	v_fma_f16 v23, v23, v25, -v52
	v_fmac_f16_e32 v54, v30, v2
	v_fmac_f16_e32 v58, v31, v3
	;; [unrolled: 1-line block ×4, first 2 shown]
	v_fma_f16 v4, v17, v4, -v63
	v_fma_f16 v5, v18, v5, -v64
	v_add_f16_e32 v17, v33, v28
	v_sub_f16_e32 v18, v0, v15
	v_add_f16_e32 v30, v0, v15
	v_sub_f16_e32 v31, v33, v28
	v_add_f16_e32 v0, v42, v0
	v_add_f16_e32 v33, v9, v33
	v_fmac_f16_e32 v36, v48, v25
	v_fmac_f16_e32 v53, v47, v7
	v_fma_f16 v2, v19, v2, -v55
	v_fma_f16 v7, v22, v7, -v56
	v_fmac_f16_e32 v57, v46, v6
	v_fma_f16 v3, v20, v3, -v59
	v_fma_f16 v6, v21, v6, -v60
	v_sub_f16_e32 v20, v1, v23
	v_add_f16_e32 v32, v1, v23
	v_add_f16_e32 v0, v0, v1
	;; [unrolled: 1-line block ×5, first 2 shown]
	v_sub_f16_e32 v22, v2, v7
	v_add_f16_e32 v24, v58, v57
	v_sub_f16_e32 v25, v3, v6
	v_add_f16_e32 v26, v62, v61
	v_sub_f16_e32 v29, v4, v5
	v_sub_f16_e32 v34, v50, v36
	v_sub_f16_e32 v43, v54, v53
	v_sub_f16_e32 v45, v58, v57
	v_sub_f16_e32 v47, v62, v61
	v_add_f16_e32 v0, v0, v2
	v_add_f16_e32 v1, v1, v54
	v_mul_f16_e32 v48, 0xbbad, v17
	v_mul_f16_e32 v56, 0xb482, v31
	;; [unrolled: 1-line block ×8, first 2 shown]
	v_add_f16_e32 v35, v2, v7
	v_add_f16_e32 v44, v3, v6
	;; [unrolled: 1-line block ×3, first 2 shown]
	v_mul_f16_e32 v49, 0x3abb, v19
	v_mul_f16_e32 v51, 0xb93d, v21
	;; [unrolled: 1-line block ×16, first 2 shown]
	v_add_f16_e32 v0, v0, v3
	v_add_f16_e32 v1, v1, v58
	v_mul_f16_e32 v71, 0x3beb, v34
	v_mul_f16_e32 v72, 0xb853, v43
	;; [unrolled: 1-line block ×20, first 2 shown]
	v_fmamk_f16 v33, v18, 0x3482, v48
	v_fmamk_f16 v103, v30, 0xbbad, v56
	v_fmac_f16_e32 v48, 0xb482, v18
	v_fma_f16 v18, v30, 0xbbad, -v56
	v_fmamk_f16 v56, v17, 0xb93d, v65
	v_fma_f16 v108, v30, 0xb93d, -v70
	v_fmamk_f16 v113, v17, 0xb08e, v75
	;; [unrolled: 2-line block ×3, first 2 shown]
	v_fma_f16 v128, v30, 0x36a6, -v90
	v_fma_f16 v2, v17, 0xb93d, -v65
	v_fmac_f16_e32 v70, 0xb93d, v30
	v_mul_f16_e32 v87, 0x3482, v22
	v_mul_f16_e32 v89, 0x3853, v29
	;; [unrolled: 1-line block ×6, first 2 shown]
	v_fmamk_f16 v50, v20, 0xb853, v49
	v_fmamk_f16 v100, v22, 0x3a0c, v51
	;; [unrolled: 1-line block ×8, first 2 shown]
	v_fmac_f16_e32 v49, 0x3853, v20
	v_fmac_f16_e32 v51, 0xba0c, v22
	;; [unrolled: 1-line block ×4, first 2 shown]
	v_fma_f16 v20, v32, 0x3abb, -v59
	v_fma_f16 v22, v35, 0xb93d, -v60
	;; [unrolled: 1-line block ×4, first 2 shown]
	v_fmamk_f16 v59, v19, 0xb08e, v66
	v_fmamk_f16 v60, v21, 0x3abb, v67
	;; [unrolled: 1-line block ×7, first 2 shown]
	v_fma_f16 v54, v19, 0xb08e, -v66
	v_fma_f16 v65, v21, 0x3abb, -v67
	;; [unrolled: 1-line block ×7, first 2 shown]
	v_fmac_f16_e32 v80, 0xb08e, v30
	v_fma_f16 v78, v17, 0x36a6, -v85
	v_fmac_f16_e32 v90, 0x36a6, v30
	v_fma_f16 v138, v30, 0x3abb, -v31
	v_add_f16_e32 v0, v0, v4
	v_add_f16_e32 v1, v1, v62
	v_fma_f16 v109, v32, 0xb08e, -v71
	v_fma_f16 v110, v35, 0x3abb, -v72
	;; [unrolled: 1-line block ×4, first 2 shown]
	v_fmamk_f16 v115, v21, 0x36a6, v77
	v_fmamk_f16 v117, v26, 0xb93d, v79
	v_fma_f16 v119, v32, 0xbbad, -v81
	v_fma_f16 v120, v35, 0x36a6, -v82
	;; [unrolled: 1-line block ×4, first 2 shown]
	v_fmamk_f16 v124, v19, 0xb93d, v86
	v_fmamk_f16 v126, v24, 0xb08e, v88
	v_fma_f16 v129, v32, 0xb93d, -v91
	v_fma_f16 v130, v35, 0xbbad, -v92
	;; [unrolled: 1-line block ×8, first 2 shown]
	v_fmac_f16_e32 v71, 0xb08e, v32
	v_fmac_f16_e32 v72, 0x3abb, v35
	;; [unrolled: 1-line block ×4, first 2 shown]
	v_fma_f16 v75, v21, 0x36a6, -v77
	v_fma_f16 v77, v26, 0xb93d, -v79
	v_fmac_f16_e32 v81, 0xbbad, v32
	v_fmac_f16_e32 v82, 0x36a6, v35
	;; [unrolled: 1-line block ×4, first 2 shown]
	v_fma_f16 v79, v19, 0xb93d, -v86
	v_fma_f16 v86, v24, 0xb08e, -v88
	v_fmac_f16_e32 v91, 0xb93d, v32
	v_fmac_f16_e32 v92, 0xbbad, v35
	v_fmac_f16_e32 v93, 0xb08e, v44
	v_fmac_f16_e32 v94, 0x3abb, v46
	v_fma_f16 v17, v17, 0x3abb, -v95
	v_fmac_f16_e32 v31, 0x3abb, v30
	v_fmac_f16_e32 v34, 0x36a6, v32
	;; [unrolled: 1-line block ×5, first 2 shown]
	v_add_f16_e32 v30, v9, v33
	v_add_f16_e32 v32, v42, v103
	;; [unrolled: 1-line block ×12, first 2 shown]
	v_fmamk_f16 v125, v21, 0xbbad, v87
	v_fmamk_f16 v127, v26, 0x3abb, v89
	;; [unrolled: 1-line block ×3, first 2 shown]
	v_fma_f16 v85, v21, 0xbbad, -v87
	v_fma_f16 v87, v26, 0x3abb, -v89
	v_add_f16_e32 v89, v9, v133
	v_add_f16_e32 v58, v9, v68
	;; [unrolled: 1-line block ×8, first 2 shown]
	v_fma_f16 v19, v19, 0x36a6, -v96
	v_add_f16_e32 v9, v9, v17
	v_add_f16_e32 v17, v42, v31
	;; [unrolled: 1-line block ×14, first 2 shown]
	v_fmamk_f16 v135, v21, 0xb08e, v97
	v_add_f16_e32 v48, v134, v89
	v_add_f16_e32 v4, v69, v58
	;; [unrolled: 1-line block ×8, first 2 shown]
	v_fma_f16 v21, v21, 0xb08e, -v97
	v_add_f16_e32 v9, v19, v9
	v_add_f16_e32 v17, v34, v17
	;; [unrolled: 1-line block ×14, first 2 shown]
	v_fmamk_f16 v136, v24, 0xb93d, v98
	v_add_f16_e32 v42, v135, v48
	v_add_f16_e32 v4, v75, v4
	;; [unrolled: 1-line block ×8, first 2 shown]
	v_fma_f16 v24, v24, 0xb93d, -v98
	v_add_f16_e32 v9, v21, v9
	v_add_f16_e32 v17, v43, v17
	;; [unrolled: 1-line block ×19, first 2 shown]
	v_fmamk_f16 v137, v26, 0xbbad, v99
	v_add_f16_e32 v35, v141, v44
	v_add_f16_e32 v0, v0, v23
	;; [unrolled: 1-line block ×3, first 2 shown]
	v_fma_f16 v26, v26, 0xbbad, -v99
	v_add_f16_e32 v9, v24, v9
	v_add_f16_e32 v17, v45, v17
	;; [unrolled: 1-line block ×24, first 2 shown]
	v_pack_b32_f16 v26, v31, v30
	v_pack_b32_f16 v25, v29, v25
	;; [unrolled: 1-line block ×11, first 2 shown]
	ds_write2_b32 v27, v26, v25 offset0:12 offset1:18
	ds_write2_b32 v27, v20, v18 offset0:24 offset1:30
	ds_write2_b32 v27, v19, v2 offset0:36 offset1:42
	ds_write2_b32 v27, v3, v4 offset0:48 offset1:54
	ds_write2_b32 v27, v0, v23 offset1:6
	ds_write_b32 v27, v5 offset:240
.LBB0_16:
	s_or_b32 exec_lo, exec_lo, s1
	v_add_nc_u32_e32 v24, 0xc6, v8
	v_mov_b32_e32 v4, 0xf83f
	v_add_nc_u32_e32 v25, 0x108, v8
	v_and_b32_e32 v0, 0xff, v12
	v_add_nc_u32_e32 v23, 0x14a, v8
	v_add_nc_u32_e32 v5, 0x18c, v8
	v_mul_u32_u24_sdwa v1, v24, v4 dst_sel:DWORD dst_unused:UNUSED_PAD src0_sel:WORD_0 src1_sel:DWORD
	v_add_nc_u32_e32 v6, 0x1ce, v8
	v_add_nc_u32_e32 v7, 0x210, v8
	v_mul_u32_u24_sdwa v45, v25, v4 dst_sel:DWORD dst_unused:UNUSED_PAD src0_sel:WORD_0 src1_sel:DWORD
	v_mul_lo_u16 v0, 0xf9, v0
	v_lshrrev_b32_e32 v1, 22, v1
	v_mul_u32_u24_sdwa v46, v23, v4 dst_sel:DWORD dst_unused:UNUSED_PAD src0_sel:WORD_0 src1_sel:DWORD
	v_mul_u32_u24_sdwa v18, v6, v4 dst_sel:DWORD dst_unused:UNUSED_PAD src0_sel:WORD_0 src1_sel:DWORD
	v_lshrrev_b32_e32 v19, 22, v45
	v_lshrrev_b16 v2, 14, v0
	v_mul_lo_u16 v3, 0x42, v1
	v_lshrrev_b32_e32 v20, 22, v46
	v_lshrrev_b32_e32 v18, 22, v18
	v_mul_lo_u16 v19, 0x42, v19
	v_mov_b32_e32 v9, 0
	v_sub_nc_u16 v17, v24, v3
	v_mul_lo_u16 v15, 0x42, v2
	v_mul_lo_u16 v20, 0x42, v20
	;; [unrolled: 1-line block ×3, first 2 shown]
	v_sub_nc_u16 v19, v25, v19
	v_lshlrev_b32_sdwa v36, v16, v17 dst_sel:DWORD dst_unused:UNUSED_PAD src0_sel:DWORD src1_sel:WORD_0
	v_mul_u32_u24_sdwa v17, v5, v4 dst_sel:DWORD dst_unused:UNUSED_PAD src0_sel:WORD_0 src1_sel:DWORD
	v_mul_u32_u24_sdwa v4, v7, v4 dst_sel:DWORD dst_unused:UNUSED_PAD src0_sel:WORD_0 src1_sel:DWORD
	v_lshlrev_b64 v[0:1], 2, v[8:9]
	v_sub_nc_u16 v15, v12, v15
	v_sub_nc_u16 v20, v23, v20
	v_lshrrev_b32_e32 v17, 22, v17
	v_lshrrev_b32_e32 v4, 22, v4
	v_sub_nc_u16 v6, v6, v18
	v_lshlrev_b32_sdwa v47, v16, v19 dst_sel:DWORD dst_unused:UNUSED_PAD src0_sel:DWORD src1_sel:WORD_0
	v_lshlrev_b32_sdwa v48, v16, v20 dst_sel:DWORD dst_unused:UNUSED_PAD src0_sel:DWORD src1_sel:WORD_0
	v_mul_lo_u16 v17, 0x42, v17
	v_mul_lo_u16 v4, 0x42, v4
	v_lshlrev_b32_sdwa v59, v16, v15 dst_sel:DWORD dst_unused:UNUSED_PAD src0_sel:DWORD src1_sel:BYTE_0
	v_add_co_u32 v2, s0, s8, v0
	v_sub_nc_u16 v5, v5, v17
	v_sub_nc_u16 v4, v7, v4
	v_lshlrev_b32_sdwa v50, v16, v6 dst_sel:DWORD dst_unused:UNUSED_PAD src0_sel:DWORD src1_sel:WORD_0
	s_waitcnt lgkmcnt(0)
	s_barrier
	v_lshlrev_b32_sdwa v49, v16, v5 dst_sel:DWORD dst_unused:UNUSED_PAD src0_sel:DWORD src1_sel:WORD_0
	buffer_gl0_inv
	v_add_co_ci_u32_e64 v3, s0, s9, v1, s0
	v_lshlrev_b32_sdwa v51, v16, v4 dst_sel:DWORD dst_unused:UNUSED_PAD src0_sel:DWORD src1_sel:WORD_0
	s_clause 0x7
	global_load_dword v52, v36, s[8:9] offset:240
	global_load_dword v53, v47, s[8:9] offset:240
	;; [unrolled: 1-line block ×6, first 2 shown]
	global_load_dword v58, v[2:3], off offset:240
	global_load_dword v60, v59, s[8:9] offset:240
	v_lshlrev_b32_e32 v3, 2, v12
	v_add_nc_u32_e32 v6, 0x800, v39
	v_add3_u32 v15, 0, v41, v40
	v_add_nc_u32_e32 v7, 0x200, v39
	v_add_nc_u32_e32 v21, 0xc00, v39
	v_add3_u32 v18, 0, v3, v40
	v_add_nc_u32_e32 v19, 0x400, v39
	v_add_nc_u32_e32 v22, 0xa00, v39
	;; [unrolled: 1-line block ×4, first 2 shown]
	ds_read2_b32 v[26:27], v6 offset0:82 offset1:148
	ds_read_b32 v61, v37
	ds_read2_b32 v[28:29], v7 offset0:70 offset1:136
	ds_read2_b32 v[30:31], v19 offset0:74 offset1:140
	;; [unrolled: 1-line block ×6, first 2 shown]
	ds_read_b32 v62, v18
	ds_read_b32 v63, v15
	ds_read_b32 v64, v39 offset:4488
	v_lshlrev_b32_e32 v2, 1, v8
	v_mov_b32_e32 v3, v9
	v_add3_u32 v59, 0, v59, v40
	v_add3_u32 v36, 0, v36, v40
	v_lshlrev_b32_e32 v4, 1, v14
	v_mov_b32_e32 v5, v9
	v_add3_u32 v47, 0, v47, v40
	v_lshrrev_b32_e32 v45, 23, v45
	v_add3_u32 v48, 0, v48, v40
	v_add3_u32 v49, 0, v49, v40
	;; [unrolled: 1-line block ×4, first 2 shown]
	v_lshlrev_b64 v[2:3], 2, v[2:3]
	v_lshrrev_b32_e32 v46, 23, v46
	v_add_nc_u32_e32 v59, 0x400, v59
	v_add_nc_u32_e32 v36, 0x400, v36
	v_lshlrev_b64 v[4:5], 2, v[4:5]
	v_add_nc_u32_e32 v47, 0x800, v47
	s_waitcnt vmcnt(0) lgkmcnt(0)
	s_barrier
	buffer_gl0_inv
	v_add_nc_u32_e32 v48, 0x800, v48
	v_add_nc_u32_e32 v49, 0xc00, v49
	;; [unrolled: 1-line block ×4, first 2 shown]
	v_add_co_u32 v2, s0, s8, v2
	v_add_co_ci_u32_e64 v3, s0, s9, v3, s0
	v_add_co_u32 v4, s0, s8, v4
	v_add_co_ci_u32_e64 v5, s0, s9, v5, s0
	s_add_u32 s1, s8, 0x1278
	s_addc_u32 s4, s9, 0
	s_mov_b32 s5, exec_lo
	v_pk_mul_f16 v72, v44, v52 op_sel:[0,1]
	v_pk_mul_f16 v71, v41, v53 op_sel:[0,1]
	v_pk_mul_f16 v70, v42, v54 op_sel:[0,1]
	v_pk_mul_f16 v69, v34, v55 op_sel:[0,1]
	v_pk_mul_f16 v68, v35, v56 op_sel:[0,1]
	v_pk_mul_f16 v67, v64, v57 op_sel:[0,1]
	v_pk_mul_f16 v65, v58, v27 op_sel:[0,1]
	v_pk_mul_f16 v66, v58, v26 op_sel:[0,1]
	v_pk_mul_f16 v73, v43, v60 op_sel:[0,1]
	v_pk_fma_f16 v74, v58, v27, v65 op_sel:[0,0,1] op_sel_hi:[1,1,0] neg_lo:[0,0,1] neg_hi:[0,0,1]
	v_pk_fma_f16 v27, v58, v27, v65 op_sel:[0,0,1] op_sel_hi:[1,0,0]
	v_pk_fma_f16 v65, v58, v26, v66 op_sel:[0,0,1] op_sel_hi:[1,1,0] neg_lo:[0,0,1] neg_hi:[0,0,1]
	v_pk_fma_f16 v26, v58, v26, v66 op_sel:[0,0,1] op_sel_hi:[1,0,0]
	;; [unrolled: 2-line block ×9, first 2 shown]
	v_bfi_b32 v26, 0xffff, v65, v26
	v_bfi_b32 v27, 0xffff, v74, v27
	;; [unrolled: 1-line block ×9, first 2 shown]
	v_pk_add_f16 v26, v61, v26 neg_lo:[0,1] neg_hi:[0,1]
	v_pk_add_f16 v27, v63, v27 neg_lo:[0,1] neg_hi:[0,1]
	;; [unrolled: 1-line block ×9, first 2 shown]
	v_pk_fma_f16 v53, v61, 2.0, v26 op_sel_hi:[1,0,1] neg_lo:[0,0,1] neg_hi:[0,0,1]
	v_pk_fma_f16 v54, v63, 2.0, v27 op_sel_hi:[1,0,1] neg_lo:[0,0,1] neg_hi:[0,0,1]
	;; [unrolled: 1-line block ×9, first 2 shown]
	ds_write2_b32 v39, v53, v26 offset1:66
	ds_write2_b32 v39, v54, v27 offset0:132 offset1:198
	ds_write2_b32 v59, v55, v43 offset0:8 offset1:74
	;; [unrolled: 1-line block ×8, first 2 shown]
	v_mul_lo_u16 v30, 0x84, v45
	v_mul_lo_u16 v32, 0x84, v46
	v_mov_b32_e32 v31, 3
	s_waitcnt lgkmcnt(0)
	s_barrier
	v_sub_nc_u16 v36, v25, v30
	v_sub_nc_u16 v45, v23, v32
	buffer_gl0_inv
	s_clause 0x1
	global_load_dwordx2 v[26:27], v[2:3], off offset:504
	global_load_dwordx2 v[28:29], v[4:5], off offset:504
	v_lshlrev_b32_sdwa v30, v31, v36 dst_sel:DWORD dst_unused:UNUSED_PAD src0_sel:DWORD src1_sel:WORD_0
	v_lshlrev_b32_sdwa v32, v31, v45 dst_sel:DWORD dst_unused:UNUSED_PAD src0_sel:DWORD src1_sel:WORD_0
	s_clause 0x1
	global_load_dwordx2 v[30:31], v30, s[8:9] offset:504
	global_load_dwordx2 v[32:33], v32, s[8:9] offset:504
	v_mov_b32_e32 v35, v9
	v_lshlrev_b32_e32 v41, 1, v24
	v_mov_b32_e32 v42, v9
	v_lshlrev_b32_e32 v24, 1, v25
	v_mov_b32_e32 v25, v9
	v_mov_b32_e32 v44, v9
	v_lshlrev_b32_sdwa v9, v16, v36 dst_sel:DWORD dst_unused:UNUSED_PAD src0_sel:DWORD src1_sel:WORD_0
	v_lshlrev_b32_sdwa v16, v16, v45 dst_sel:DWORD dst_unused:UNUSED_PAD src0_sel:DWORD src1_sel:WORD_0
	v_lshlrev_b32_e32 v43, 1, v23
	v_lshlrev_b64 v[23:24], 2, v[24:25]
	v_lshlrev_b32_e32 v34, 1, v12
	v_add3_u32 v9, 0, v9, v40
	v_add3_u32 v16, 0, v16, v40
	ds_read_b32 v25, v37
	ds_read_b32 v36, v15
	;; [unrolled: 1-line block ×3, first 2 shown]
	ds_read2_b32 v[45:46], v20 offset0:78 offset1:144
	ds_read2_b32 v[47:48], v21 offset0:90 offset1:156
	;; [unrolled: 1-line block ×7, first 2 shown]
	ds_read_b32 v60, v39 offset:4488
	v_lshlrev_b64 v[34:35], 2, v[34:35]
	v_lshlrev_b64 v[41:42], 2, v[41:42]
	v_add_nc_u32_e32 v59, 0x600, v15
	v_lshlrev_b64 v[43:44], 2, v[43:44]
	v_add_nc_u32_e32 v61, 0xc00, v9
	v_add_nc_u32_e32 v62, 0xc00, v16
	v_add_co_u32 v34, s0, s8, v34
	v_add_co_ci_u32_e64 v35, s0, s9, v35, s0
	s_waitcnt lgkmcnt(10)
	v_lshrrev_b32_e32 v63, 16, v25
	s_waitcnt lgkmcnt(9)
	v_lshrrev_b32_e32 v64, 16, v36
	;; [unrolled: 2-line block ×4, first 2 shown]
	v_lshrrev_b32_e32 v66, 16, v46
	v_lshrrev_b32_e32 v67, 16, v48
	s_waitcnt lgkmcnt(4)
	v_lshrrev_b32_e32 v69, 16, v51
	s_waitcnt lgkmcnt(2)
	;; [unrolled: 2-line block ×3, first 2 shown]
	v_lshrrev_b32_e32 v78, 16, v58
	v_lshrrev_b32_e32 v70, 16, v53
	;; [unrolled: 1-line block ×5, first 2 shown]
	s_waitcnt lgkmcnt(0)
	v_lshrrev_b32_e32 v77, 16, v60
	v_lshrrev_b32_e32 v65, 16, v40
	;; [unrolled: 1-line block ×5, first 2 shown]
	s_waitcnt vmcnt(0)
	s_barrier
	buffer_gl0_inv
	v_mul_f16_sdwa v81, v26, v76 dst_sel:DWORD dst_unused:UNUSED_PAD src0_sel:WORD_1 src1_sel:DWORD
	v_mul_f16_sdwa v82, v26, v56 dst_sel:DWORD dst_unused:UNUSED_PAD src0_sel:WORD_1 src1_sel:DWORD
	;; [unrolled: 1-line block ×8, first 2 shown]
	v_mul_f16_sdwa v89, v66, v26 dst_sel:DWORD dst_unused:UNUSED_PAD src0_sel:DWORD src1_sel:WORD_1
	v_mul_f16_sdwa v90, v46, v26 dst_sel:DWORD dst_unused:UNUSED_PAD src0_sel:DWORD src1_sel:WORD_1
	;; [unrolled: 1-line block ×16, first 2 shown]
	v_fma_f16 v56, v26, v56, -v81
	v_fmac_f16_e32 v82, v26, v76
	v_fma_f16 v58, v27, v58, -v83
	v_fmac_f16_e32 v84, v27, v78
	v_fma_f16 v45, v28, v45, -v85
	v_fmac_f16_e32 v86, v28, v79
	v_fma_f16 v47, v29, v47, -v87
	v_fmac_f16_e32 v88, v29, v80
	v_fma_f16 v46, v46, v26, -v89
	v_fmac_f16_e32 v90, v66, v26
	v_fma_f16 v26, v48, v27, -v91
	v_fmac_f16_e32 v92, v67, v27
	v_fma_f16 v27, v51, v28, -v93
	v_fmac_f16_e32 v94, v69, v28
	v_fma_f16 v28, v53, v29, -v95
	v_fmac_f16_e32 v96, v70, v29
	v_fma_f16 v29, v52, v30, -v97
	v_fmac_f16_e32 v98, v72, v30
	v_fma_f16 v30, v54, v31, -v99
	v_fmac_f16_e32 v100, v73, v31
	v_fma_f16 v31, v57, v32, -v101
	v_fmac_f16_e32 v102, v75, v32
	v_fma_f16 v32, v60, v33, -v103
	v_fmac_f16_e32 v104, v77, v33
	v_add_f16_e32 v48, v56, v58
	v_add_f16_e32 v53, v82, v84
	;; [unrolled: 1-line block ×7, first 2 shown]
	v_sub_f16_e32 v51, v82, v84
	v_add_f16_e32 v52, v63, v82
	v_sub_f16_e32 v54, v56, v58
	v_add_f16_e32 v56, v36, v45
	;; [unrolled: 2-line block ×3, first 2 shown]
	v_add_f16_e32 v77, v27, v28
	v_add_f16_e32 v80, v94, v96
	;; [unrolled: 1-line block ×6, first 2 shown]
	v_fmac_f16_e32 v25, -0.5, v48
	v_fmac_f16_e32 v63, -0.5, v53
	v_sub_f16_e32 v45, v45, v47
	v_fmac_f16_e32 v36, -0.5, v57
	v_fmac_f16_e32 v64, -0.5, v67
	v_add_f16_e32 v69, v40, v46
	v_sub_f16_e32 v72, v90, v92
	v_add_f16_e32 v73, v65, v90
	v_sub_f16_e32 v46, v46, v26
	v_fmac_f16_e32 v40, -0.5, v70
	v_fmac_f16_e32 v65, -0.5, v75
	v_add_f16_e32 v76, v49, v27
	v_sub_f16_e32 v78, v94, v96
	v_add_f16_e32 v79, v68, v94
	v_sub_f16_e32 v27, v27, v28
	;; [unrolled: 2-line block ×6, first 2 shown]
	v_add_f16_e32 v33, v33, v58
	v_add_f16_e32 v48, v52, v84
	;; [unrolled: 1-line block ×4, first 2 shown]
	v_fma_f16 v49, -0.5, v77, v49
	v_fmac_f16_e32 v68, -0.5, v80
	v_fmac_f16_e32 v50, -0.5, v82
	;; [unrolled: 1-line block ×5, first 2 shown]
	v_fmamk_f16 v66, v51, 0x3aee, v25
	v_fmac_f16_e32 v25, 0xbaee, v51
	v_fmamk_f16 v51, v54, 0xbaee, v63
	v_fmac_f16_e32 v63, 0x3aee, v54
	;; [unrolled: 2-line block ×4, first 2 shown]
	v_add_f16_e32 v26, v69, v26
	v_add_f16_e32 v53, v73, v92
	v_fmamk_f16 v45, v72, 0x3aee, v40
	v_fmamk_f16 v67, v46, 0xbaee, v65
	v_add_f16_e32 v28, v76, v28
	v_add_f16_e32 v56, v79, v96
	v_add_f16_e32 v30, v81, v30
	v_add_f16_e32 v57, v85, v100
	v_add_f16_e32 v32, v87, v32
	v_add_f16_e32 v58, v91, v104
	v_fmac_f16_e32 v40, 0xbaee, v72
	v_fmac_f16_e32 v65, 0x3aee, v46
	v_fmamk_f16 v46, v78, 0x3aee, v49
	v_fmac_f16_e32 v49, 0xbaee, v78
	v_fmamk_f16 v69, v27, 0xbaee, v68
	;; [unrolled: 2-line block ×6, first 2 shown]
	v_fmac_f16_e32 v74, 0x3aee, v31
	v_pack_b32_f16 v31, v33, v48
	v_pack_b32_f16 v33, v47, v52
	;; [unrolled: 1-line block ×18, first 2 shown]
	ds_write2_b32 v39, v31, v47 offset1:132
	ds_write_b32 v39, v25 offset:1056
	ds_write2_b32 v15, v33, v48 offset1:132
	ds_write_b32 v15, v36 offset:1056
	ds_write2_b32 v20, v26, v45 offset0:12 offset1:144
	ds_write_b32 v39, v40 offset:2640
	ds_write2_b32 v59, v28, v46 offset0:12 offset1:144
	;; [unrolled: 2-line block ×4, first 2 shown]
	ds_write_b32 v16, v51 offset:4224
	v_add_co_u32 v25, s0, s8, v41
	v_add_co_ci_u32_e64 v26, s0, s9, v42, s0
	v_add_co_u32 v23, s0, s8, v23
	v_add_co_ci_u32_e64 v24, s0, s9, v24, s0
	v_add_co_u32 v29, s0, s8, v43
	s_waitcnt lgkmcnt(0)
	s_barrier
	buffer_gl0_inv
	s_clause 0x1
	global_load_dwordx2 v[2:3], v[2:3], off offset:1560
	global_load_dwordx2 v[4:5], v[4:5], off offset:1560
	v_add_co_ci_u32_e64 v30, s0, s9, v44, s0
	s_clause 0x3
	global_load_dwordx2 v[27:28], v[34:35], off offset:1560
	global_load_dwordx2 v[25:26], v[25:26], off offset:1560
	global_load_dwordx2 v[23:24], v[23:24], off offset:1560
	global_load_dwordx2 v[29:30], v[29:30], off offset:1560
	ds_read_b32 v9, v37
	ds_read_b32 v16, v15
	;; [unrolled: 1-line block ×3, first 2 shown]
	ds_read2_b32 v[31:32], v20 offset0:78 offset1:144
	ds_read2_b32 v[20:21], v21 offset0:90 offset1:156
	;; [unrolled: 1-line block ×7, first 2 shown]
	ds_read_b32 v19, v39 offset:4488
	s_waitcnt vmcnt(0) lgkmcnt(0)
	s_barrier
	buffer_gl0_inv
	v_lshrrev_b32_e32 v22, 16, v9
	v_lshrrev_b32_e32 v47, 16, v16
	;; [unrolled: 1-line block ×18, first 2 shown]
	v_mul_f16_sdwa v64, v2, v59 dst_sel:DWORD dst_unused:UNUSED_PAD src0_sel:WORD_1 src1_sel:DWORD
	v_mul_f16_sdwa v65, v2, v43 dst_sel:DWORD dst_unused:UNUSED_PAD src0_sel:WORD_1 src1_sel:DWORD
	;; [unrolled: 1-line block ×8, first 2 shown]
	v_mul_f16_sdwa v72, v49, v27 dst_sel:DWORD dst_unused:UNUSED_PAD src0_sel:DWORD src1_sel:WORD_1
	v_mul_f16_sdwa v73, v32, v27 dst_sel:DWORD dst_unused:UNUSED_PAD src0_sel:DWORD src1_sel:WORD_1
	;; [unrolled: 1-line block ×16, first 2 shown]
	v_fma_f16 v43, v2, v43, -v64
	v_fmac_f16_e32 v65, v2, v59
	v_fma_f16 v2, v3, v45, -v66
	v_fmac_f16_e32 v67, v3, v61
	;; [unrolled: 2-line block ×12, first 2 shown]
	v_add_f16_e32 v27, v9, v43
	v_add_f16_e32 v28, v43, v2
	;; [unrolled: 1-line block ×4, first 2 shown]
	v_sub_f16_e32 v32, v43, v2
	v_add_f16_e32 v36, v3, v4
	v_add_f16_e32 v43, v69, v71
	v_sub_f16_e32 v29, v65, v67
	v_add_f16_e32 v41, v47, v69
	v_add_f16_e32 v45, v5, v20
	;; [unrolled: 1-line block ×10, first 2 shown]
	v_fmac_f16_e32 v9, -0.5, v28
	v_add_f16_e32 v27, v30, v67
	v_fmac_f16_e32 v22, -0.5, v31
	v_add_f16_e32 v35, v16, v3
	v_sub_f16_e32 v40, v69, v71
	v_sub_f16_e32 v3, v3, v4
	v_fmac_f16_e32 v16, -0.5, v36
	v_fmac_f16_e32 v47, -0.5, v43
	v_add_f16_e32 v44, v46, v5
	v_sub_f16_e32 v49, v73, v75
	v_add_f16_e32 v50, v48, v73
	v_sub_f16_e32 v5, v5, v20
	;; [unrolled: 2-line block ×8, first 2 shown]
	v_add_f16_e32 v28, v41, v71
	v_fmac_f16_e32 v46, -0.5, v45
	v_fmac_f16_e32 v48, -0.5, v52
	v_fma_f16 v31, -0.5, v55, v33
	v_fmac_f16_e32 v51, -0.5, v59
	v_fmac_f16_e32 v34, -0.5, v61
	;; [unrolled: 1-line block ×5, first 2 shown]
	v_fmamk_f16 v41, v29, 0x3aee, v9
	v_fmac_f16_e32 v9, 0xbaee, v29
	v_fmamk_f16 v29, v32, 0xbaee, v22
	v_pack_b32_f16 v2, v2, v27
	v_fmac_f16_e32 v22, 0x3aee, v32
	v_add_f16_e32 v4, v35, v4
	v_fmamk_f16 v32, v40, 0x3aee, v16
	v_fmac_f16_e32 v16, 0xbaee, v40
	v_fmamk_f16 v40, v3, 0xbaee, v47
	v_fmac_f16_e32 v47, 0x3aee, v3
	v_add_f16_e32 v20, v44, v20
	v_add_f16_e32 v30, v50, v75
	;; [unrolled: 1-line block ×8, first 2 shown]
	v_fmamk_f16 v3, v49, 0x3aee, v46
	v_fmac_f16_e32 v46, 0xbaee, v49
	v_fmamk_f16 v43, v5, 0xbaee, v48
	v_fmac_f16_e32 v48, 0x3aee, v5
	;; [unrolled: 2-line block ×8, first 2 shown]
	ds_write_b32 v39, v2
	v_pack_b32_f16 v2, v41, v29
	v_pack_b32_f16 v9, v9, v22
	;; [unrolled: 1-line block ×17, first 2 shown]
	ds_write_b32 v39, v2 offset:1584
	ds_write_b32 v39, v9 offset:3168
	ds_write_b32 v15, v4
	ds_write_b32 v15, v22 offset:1584
	ds_write_b32 v15, v16 offset:3168
	ds_write_b32 v18, v20
	ds_write_b32 v18, v3 offset:1584
	ds_write_b32 v18, v25 offset:3168
	ds_write2_b32 v7, v24, v23 offset0:70 offset1:136
	ds_write2_b32 v6, v5, v21 offset0:82 offset1:148
	;; [unrolled: 1-line block ×3, first 2 shown]
	ds_write_b32 v39, v19 offset:1320
	ds_write_b32 v39, v26 offset:2904
	;; [unrolled: 1-line block ×3, first 2 shown]
	s_waitcnt lgkmcnt(0)
	s_barrier
	buffer_gl0_inv
	ds_read_b32 v6, v37
	v_sub_nc_u32_e32 v2, v38, v13
                                        ; implicit-def: $vgpr4
                                        ; implicit-def: $vgpr3
                                        ; implicit-def: $vgpr5
	v_cmpx_ne_u32_e32 0, v8
	s_xor_b32 s5, exec_lo, s5
	s_cbranch_execz .LBB0_18
; %bb.17:
	v_add_co_u32 v3, s0, s1, v0
	v_add_co_ci_u32_e64 v4, s0, s4, v1, s0
	global_load_dword v3, v[3:4], off
	ds_read_b32 v4, v2 offset:4752
	s_waitcnt lgkmcnt(0)
	v_pk_add_f16 v5, v6, v4 neg_lo:[0,1] neg_hi:[0,1]
	v_pk_add_f16 v4, v4, v6
	v_bfi_b32 v6, 0xffff, v5, v4
	v_bfi_b32 v4, 0xffff, v4, v5
	v_pk_mul_f16 v6, v6, 0.5 op_sel_hi:[1,0]
	v_pk_mul_f16 v7, v4, 0.5 op_sel_hi:[1,0]
	s_waitcnt vmcnt(0)
	v_pk_mul_f16 v5, v3, v6 op_sel:[1,0]
	v_pk_mul_f16 v6, v3, v6 op_sel_hi:[0,1]
	v_pk_fma_f16 v3, v4, 0.5, v5 op_sel_hi:[1,0,1]
	v_sub_f16_e32 v4, v7, v5
	v_sub_f16_sdwa v5, v5, v7 dst_sel:DWORD dst_unused:UNUSED_PAD src0_sel:WORD_1 src1_sel:WORD_1
	v_pk_add_f16 v9, v3, v6 op_sel:[0,1] op_sel_hi:[1,0]
	v_pk_add_f16 v13, v3, v6 op_sel:[0,1] op_sel_hi:[1,0] neg_lo:[0,1] neg_hi:[0,1]
	v_sub_f16_sdwa v3, v4, v6 dst_sel:DWORD dst_unused:UNUSED_PAD src0_sel:DWORD src1_sel:WORD_1
	v_sub_f16_e32 v5, v5, v6
                                        ; implicit-def: $vgpr6
	v_bfi_b32 v4, 0xffff, v9, v13
.LBB0_18:
	s_andn2_saveexec_b32 s0, s5
	s_cbranch_execz .LBB0_20
; %bb.19:
	ds_read_u16 v4, v38 offset:2378
	s_waitcnt lgkmcnt(1)
	v_alignbit_b32 v3, s0, v6, 16
	v_pk_add_f16 v5, v3, v6
	v_sub_f16_sdwa v3, v6, v6 dst_sel:DWORD dst_unused:UNUSED_PAD src0_sel:DWORD src1_sel:WORD_1
	s_waitcnt lgkmcnt(0)
	v_xor_b32_e32 v6, 0x8000, v4
	v_pack_b32_f16 v4, v5, 0
	v_mov_b32_e32 v5, 0
	ds_write_b16 v38, v6 offset:2378
.LBB0_20:
	s_or_b32 exec_lo, exec_lo, s0
	v_mov_b32_e32 v15, 0
	s_waitcnt lgkmcnt(0)
	v_lshlrev_b64 v[6:7], 2, v[14:15]
	v_mov_b32_e32 v13, v15
	v_lshl_add_u32 v14, v14, 2, v38
	v_add_co_u32 v6, s0, s1, v6
	v_add_co_ci_u32_e64 v7, s0, s4, v7, s0
	global_load_dword v9, v[6:7], off
	v_lshlrev_b64 v[6:7], 2, v[12:13]
	v_add_co_u32 v6, s0, s1, v6
	v_add_co_ci_u32_e64 v7, s0, s4, v7, s0
	global_load_dword v13, v[6:7], off
	v_add_co_u32 v6, s0, s1, v0
	v_add_co_ci_u32_e64 v7, s0, s4, v1, s0
	s_clause 0x2
	global_load_dword v15, v[6:7], off offset:792
	global_load_dword v16, v[6:7], off offset:1056
	;; [unrolled: 1-line block ×3, first 2 shown]
	ds_write_b16 v2, v5 offset:4754
	ds_write_b32 v37, v4
	ds_write_b16 v2, v3 offset:4752
	ds_read_b32 v3, v14
	ds_read_b32 v4, v2 offset:4488
	global_load_dword v5, v[6:7], off offset:1584
	s_waitcnt lgkmcnt(0)
	v_pk_add_f16 v18, v3, v4 neg_lo:[0,1] neg_hi:[0,1]
	v_pk_add_f16 v3, v3, v4
	v_bfi_b32 v19, 0xffff, v18, v3
	v_bfi_b32 v18, 0xffff, v3, v18
	v_add_co_u32 v3, s0, 0x800, v6
	v_add_co_ci_u32_e64 v4, s0, 0, v7, s0
	v_pk_mul_f16 v19, v19, 0.5 op_sel_hi:[1,0]
	v_pk_mul_f16 v18, v18, 0.5 op_sel_hi:[1,0]
	s_clause 0x1
	global_load_dword v6, v[6:7], off offset:1848
	global_load_dword v3, v[3:4], off offset:64
	s_waitcnt vmcnt(7)
	v_pk_fma_f16 v4, v9, v19, v18 op_sel:[1,0,0]
	v_pk_mul_f16 v7, v9, v19 op_sel_hi:[0,1]
	v_pk_fma_f16 v20, v9, v19, v18 op_sel:[1,0,0] neg_lo:[1,0,0] neg_hi:[1,0,0]
	v_pk_fma_f16 v9, v9, v19, v18 op_sel:[1,0,0] neg_lo:[0,0,1] neg_hi:[0,0,1]
	v_pk_add_f16 v18, v4, v7 op_sel:[0,1] op_sel_hi:[1,0]
	v_pk_add_f16 v4, v4, v7 op_sel:[0,1] op_sel_hi:[1,0] neg_lo:[0,1] neg_hi:[0,1]
	v_pk_add_f16 v19, v20, v7 op_sel:[0,1] op_sel_hi:[1,0] neg_lo:[0,1] neg_hi:[0,1]
	;; [unrolled: 1-line block ×3, first 2 shown]
	v_lshl_add_u32 v9, v12, 2, v38
	v_bfi_b32 v4, 0xffff, v18, v4
	v_bfi_b32 v7, 0xffff, v19, v7
	ds_write_b32 v14, v4
	ds_write_b32 v2, v7 offset:4488
	ds_read_b32 v4, v9
	ds_read_b32 v7, v2 offset:4224
	s_waitcnt lgkmcnt(0)
	v_pk_add_f16 v12, v4, v7 neg_lo:[0,1] neg_hi:[0,1]
	v_pk_add_f16 v4, v4, v7
	v_bfi_b32 v7, 0xffff, v12, v4
	v_bfi_b32 v4, 0xffff, v4, v12
	v_pk_mul_f16 v7, v7, 0.5 op_sel_hi:[1,0]
	v_pk_mul_f16 v4, v4, 0.5 op_sel_hi:[1,0]
	s_waitcnt vmcnt(6)
	v_pk_mul_f16 v14, v13, v7 op_sel_hi:[0,1]
	v_pk_fma_f16 v12, v13, v7, v4 op_sel:[1,0,0]
	v_pk_fma_f16 v18, v13, v7, v4 op_sel:[1,0,0] neg_lo:[1,0,0] neg_hi:[1,0,0]
	v_pk_fma_f16 v4, v13, v7, v4 op_sel:[1,0,0] neg_lo:[0,0,1] neg_hi:[0,0,1]
	v_pk_add_f16 v7, v12, v14 op_sel:[0,1] op_sel_hi:[1,0]
	v_pk_add_f16 v12, v12, v14 op_sel:[0,1] op_sel_hi:[1,0] neg_lo:[0,1] neg_hi:[0,1]
	v_pk_add_f16 v13, v18, v14 op_sel:[0,1] op_sel_hi:[1,0] neg_lo:[0,1] neg_hi:[0,1]
	;; [unrolled: 1-line block ×3, first 2 shown]
	v_bfi_b32 v7, 0xffff, v7, v12
	v_bfi_b32 v4, 0xffff, v13, v4
	ds_write_b32 v9, v7
	ds_write_b32 v2, v4 offset:4224
	ds_read_b32 v4, v37 offset:792
	ds_read_b32 v7, v2 offset:3960
	s_waitcnt lgkmcnt(0)
	v_pk_add_f16 v9, v4, v7 neg_lo:[0,1] neg_hi:[0,1]
	v_pk_add_f16 v4, v4, v7
	v_bfi_b32 v7, 0xffff, v9, v4
	v_bfi_b32 v4, 0xffff, v4, v9
	v_pk_mul_f16 v7, v7, 0.5 op_sel_hi:[1,0]
	v_pk_mul_f16 v12, v4, 0.5 op_sel_hi:[1,0]
	s_waitcnt vmcnt(5)
	v_pk_mul_f16 v9, v15, v7 op_sel:[1,0]
	v_pk_mul_f16 v7, v15, v7 op_sel_hi:[0,1]
	v_pk_fma_f16 v4, v4, 0.5, v9 op_sel_hi:[1,0,1]
	v_sub_f16_sdwa v13, v9, v12 dst_sel:DWORD dst_unused:UNUSED_PAD src0_sel:WORD_1 src1_sel:WORD_1
	v_sub_f16_e32 v9, v12, v9
	v_pk_add_f16 v14, v4, v7 op_sel:[0,1] op_sel_hi:[1,0]
	v_pk_add_f16 v4, v4, v7 op_sel:[0,1] op_sel_hi:[1,0] neg_lo:[0,1] neg_hi:[0,1]
	v_sub_f16_e32 v12, v13, v7
	v_sub_f16_sdwa v7, v9, v7 dst_sel:DWORD dst_unused:UNUSED_PAD src0_sel:DWORD src1_sel:WORD_1
	v_bfi_b32 v4, 0xffff, v14, v4
	ds_write_b16 v2, v12 offset:3962
	ds_write_b32 v37, v4 offset:792
	ds_write_b16 v2, v7 offset:3960
	ds_read_b32 v4, v37 offset:1056
	ds_read_b32 v7, v2 offset:3696
	s_waitcnt lgkmcnt(0)
	v_pk_add_f16 v9, v4, v7 neg_lo:[0,1] neg_hi:[0,1]
	v_pk_add_f16 v4, v4, v7
	v_bfi_b32 v7, 0xffff, v9, v4
	v_bfi_b32 v4, 0xffff, v4, v9
	v_pk_mul_f16 v7, v7, 0.5 op_sel_hi:[1,0]
	v_pk_mul_f16 v12, v4, 0.5 op_sel_hi:[1,0]
	s_waitcnt vmcnt(4)
	v_pk_mul_f16 v9, v16, v7 op_sel:[1,0]
	v_pk_mul_f16 v7, v16, v7 op_sel_hi:[0,1]
	v_pk_fma_f16 v4, v4, 0.5, v9 op_sel_hi:[1,0,1]
	v_sub_f16_sdwa v13, v9, v12 dst_sel:DWORD dst_unused:UNUSED_PAD src0_sel:WORD_1 src1_sel:WORD_1
	v_sub_f16_e32 v9, v12, v9
	v_pk_add_f16 v14, v4, v7 op_sel:[0,1] op_sel_hi:[1,0]
	v_pk_add_f16 v4, v4, v7 op_sel:[0,1] op_sel_hi:[1,0] neg_lo:[0,1] neg_hi:[0,1]
	v_sub_f16_e32 v12, v13, v7
	v_sub_f16_sdwa v7, v9, v7 dst_sel:DWORD dst_unused:UNUSED_PAD src0_sel:DWORD src1_sel:WORD_1
	v_bfi_b32 v4, 0xffff, v14, v4
	ds_write_b16 v2, v12 offset:3698
	ds_write_b32 v37, v4 offset:1056
	ds_write_b16 v2, v7 offset:3696
	;; [unrolled: 23-line block ×4, first 2 shown]
	ds_read_b32 v4, v37 offset:1848
	ds_read_b32 v5, v2 offset:2904
	s_waitcnt lgkmcnt(0)
	v_pk_add_f16 v7, v4, v5 neg_lo:[0,1] neg_hi:[0,1]
	v_pk_add_f16 v4, v4, v5
	v_bfi_b32 v5, 0xffff, v7, v4
	v_bfi_b32 v4, 0xffff, v4, v7
	v_pk_mul_f16 v5, v5, 0.5 op_sel_hi:[1,0]
	v_pk_mul_f16 v4, v4, 0.5 op_sel_hi:[1,0]
	s_waitcnt vmcnt(1)
	v_pk_mul_f16 v9, v6, v5 op_sel_hi:[0,1]
	v_pk_fma_f16 v7, v6, v5, v4 op_sel:[1,0,0]
	v_pk_fma_f16 v12, v6, v5, v4 op_sel:[1,0,0] neg_lo:[1,0,0] neg_hi:[1,0,0]
	v_pk_fma_f16 v4, v6, v5, v4 op_sel:[1,0,0] neg_lo:[0,0,1] neg_hi:[0,0,1]
	v_pk_add_f16 v5, v7, v9 op_sel:[0,1] op_sel_hi:[1,0]
	v_pk_add_f16 v6, v7, v9 op_sel:[0,1] op_sel_hi:[1,0] neg_lo:[0,1] neg_hi:[0,1]
	v_pk_add_f16 v7, v12, v9 op_sel:[0,1] op_sel_hi:[1,0] neg_lo:[0,1] neg_hi:[0,1]
	;; [unrolled: 1-line block ×3, first 2 shown]
	v_bfi_b32 v5, 0xffff, v5, v6
	v_bfi_b32 v4, 0xffff, v7, v4
	ds_write_b32 v37, v5 offset:1848
	ds_write_b32 v2, v4 offset:2904
	ds_read_b32 v4, v37 offset:2112
	ds_read_b32 v5, v2 offset:2640
	s_waitcnt lgkmcnt(0)
	v_pk_add_f16 v6, v4, v5 neg_lo:[0,1] neg_hi:[0,1]
	v_pk_add_f16 v4, v4, v5
	v_bfi_b32 v5, 0xffff, v6, v4
	v_bfi_b32 v4, 0xffff, v4, v6
	v_pk_mul_f16 v5, v5, 0.5 op_sel_hi:[1,0]
	v_pk_mul_f16 v4, v4, 0.5 op_sel_hi:[1,0]
	s_waitcnt vmcnt(0)
	v_pk_mul_f16 v7, v3, v5 op_sel_hi:[0,1]
	v_pk_fma_f16 v6, v3, v5, v4 op_sel:[1,0,0]
	v_pk_fma_f16 v9, v3, v5, v4 op_sel:[1,0,0] neg_lo:[1,0,0] neg_hi:[1,0,0]
	v_pk_fma_f16 v3, v3, v5, v4 op_sel:[1,0,0] neg_lo:[0,0,1] neg_hi:[0,0,1]
	v_pk_add_f16 v4, v6, v7 op_sel:[0,1] op_sel_hi:[1,0]
	v_pk_add_f16 v5, v6, v7 op_sel:[0,1] op_sel_hi:[1,0] neg_lo:[0,1] neg_hi:[0,1]
	v_pk_add_f16 v6, v9, v7 op_sel:[0,1] op_sel_hi:[1,0] neg_lo:[0,1] neg_hi:[0,1]
	;; [unrolled: 1-line block ×3, first 2 shown]
	v_bfi_b32 v4, 0xffff, v4, v5
	v_bfi_b32 v3, 0xffff, v6, v3
	ds_write_b32 v37, v4 offset:2112
	ds_write_b32 v2, v3 offset:2640
	s_waitcnt lgkmcnt(0)
	s_barrier
	buffer_gl0_inv
	s_and_saveexec_b32 s0, vcc_lo
	s_cbranch_execz .LBB0_23
; %bb.21:
	ds_read2_b32 v[4:5], v37 offset1:66
	ds_read2_b32 v[6:7], v37 offset0:132 offset1:198
	v_add_nc_u32_e32 v12, 0x400, v37
	v_add_nc_u32_e32 v15, 0x800, v37
	v_add_co_u32 v2, vcc_lo, s2, v10
	v_add_nc_u32_e32 v19, 0xc00, v37
	v_add_co_ci_u32_e32 v3, vcc_lo, s3, v11, vcc_lo
	ds_read2_b32 v[9:10], v12 offset0:8 offset1:74
	ds_read2_b32 v[11:12], v12 offset0:140 offset1:206
	;; [unrolled: 1-line block ×3, first 2 shown]
	v_add_co_u32 v0, vcc_lo, v2, v0
	ds_read2_b32 v[15:16], v15 offset0:148 offset1:214
	ds_read2_b32 v[17:18], v19 offset0:24 offset1:90
	v_add_co_ci_u32_e32 v1, vcc_lo, v3, v1, vcc_lo
	v_add_nc_u32_e32 v20, 0x1000, v37
	s_waitcnt lgkmcnt(6)
	global_store_dword v[0:1], v4, off
	global_store_dword v[0:1], v5, off offset:264
	s_waitcnt lgkmcnt(5)
	global_store_dword v[0:1], v6, off offset:528
	global_store_dword v[0:1], v7, off offset:792
	ds_read2_b32 v[4:5], v19 offset0:156 offset1:222
	ds_read2_b32 v[6:7], v20 offset0:32 offset1:98
	v_add_co_u32 v19, vcc_lo, 0x800, v0
	v_add_co_ci_u32_e32 v20, vcc_lo, 0, v1, vcc_lo
	s_waitcnt lgkmcnt(6)
	global_store_dword v[0:1], v9, off offset:1056
	global_store_dword v[0:1], v10, off offset:1320
	s_waitcnt lgkmcnt(5)
	global_store_dword v[0:1], v11, off offset:1584
	global_store_dword v[0:1], v12, off offset:1848
	;; [unrolled: 3-line block ×4, first 2 shown]
	s_waitcnt lgkmcnt(2)
	global_store_dword v[19:20], v17, off offset:1120
	v_add_co_u32 v0, vcc_lo, 0x1000, v0
	v_add_co_ci_u32_e32 v1, vcc_lo, 0, v1, vcc_lo
	v_cmp_eq_u32_e32 vcc_lo, 0x41, v8
	global_store_dword v[19:20], v18, off offset:1384
	s_waitcnt lgkmcnt(1)
	global_store_dword v[19:20], v4, off offset:1648
	global_store_dword v[19:20], v5, off offset:1912
	s_waitcnt lgkmcnt(0)
	global_store_dword v[0:1], v6, off offset:128
	global_store_dword v[0:1], v7, off offset:392
	s_and_b32 exec_lo, exec_lo, vcc_lo
	s_cbranch_execz .LBB0_23
; %bb.22:
	ds_read_b32 v4, v37 offset:4492
	v_add_co_u32 v0, vcc_lo, 0x1000, v2
	v_add_co_ci_u32_e32 v1, vcc_lo, 0, v3, vcc_lo
	s_waitcnt lgkmcnt(0)
	global_store_dword v[0:1], v4, off offset:656
.LBB0_23:
	s_endpgm
	.section	.rodata,"a",@progbits
	.p2align	6, 0x0
	.amdhsa_kernel fft_rtc_fwd_len1188_factors_6_11_2_3_3_wgs_198_tpt_66_halfLds_half_ip_CI_unitstride_sbrr_R2C_dirReg
		.amdhsa_group_segment_fixed_size 0
		.amdhsa_private_segment_fixed_size 0
		.amdhsa_kernarg_size 88
		.amdhsa_user_sgpr_count 6
		.amdhsa_user_sgpr_private_segment_buffer 1
		.amdhsa_user_sgpr_dispatch_ptr 0
		.amdhsa_user_sgpr_queue_ptr 0
		.amdhsa_user_sgpr_kernarg_segment_ptr 1
		.amdhsa_user_sgpr_dispatch_id 0
		.amdhsa_user_sgpr_flat_scratch_init 0
		.amdhsa_user_sgpr_private_segment_size 0
		.amdhsa_wavefront_size32 1
		.amdhsa_uses_dynamic_stack 0
		.amdhsa_system_sgpr_private_segment_wavefront_offset 0
		.amdhsa_system_sgpr_workgroup_id_x 1
		.amdhsa_system_sgpr_workgroup_id_y 0
		.amdhsa_system_sgpr_workgroup_id_z 0
		.amdhsa_system_sgpr_workgroup_info 0
		.amdhsa_system_vgpr_workitem_id 0
		.amdhsa_next_free_vgpr 150
		.amdhsa_next_free_sgpr 21
		.amdhsa_reserve_vcc 1
		.amdhsa_reserve_flat_scratch 0
		.amdhsa_float_round_mode_32 0
		.amdhsa_float_round_mode_16_64 0
		.amdhsa_float_denorm_mode_32 3
		.amdhsa_float_denorm_mode_16_64 3
		.amdhsa_dx10_clamp 1
		.amdhsa_ieee_mode 1
		.amdhsa_fp16_overflow 0
		.amdhsa_workgroup_processor_mode 1
		.amdhsa_memory_ordered 1
		.amdhsa_forward_progress 0
		.amdhsa_shared_vgpr_count 0
		.amdhsa_exception_fp_ieee_invalid_op 0
		.amdhsa_exception_fp_denorm_src 0
		.amdhsa_exception_fp_ieee_div_zero 0
		.amdhsa_exception_fp_ieee_overflow 0
		.amdhsa_exception_fp_ieee_underflow 0
		.amdhsa_exception_fp_ieee_inexact 0
		.amdhsa_exception_int_div_zero 0
	.end_amdhsa_kernel
	.text
.Lfunc_end0:
	.size	fft_rtc_fwd_len1188_factors_6_11_2_3_3_wgs_198_tpt_66_halfLds_half_ip_CI_unitstride_sbrr_R2C_dirReg, .Lfunc_end0-fft_rtc_fwd_len1188_factors_6_11_2_3_3_wgs_198_tpt_66_halfLds_half_ip_CI_unitstride_sbrr_R2C_dirReg
                                        ; -- End function
	.section	.AMDGPU.csdata,"",@progbits
; Kernel info:
; codeLenInByte = 14760
; NumSgprs: 23
; NumVgprs: 150
; ScratchSize: 0
; MemoryBound: 0
; FloatMode: 240
; IeeeMode: 1
; LDSByteSize: 0 bytes/workgroup (compile time only)
; SGPRBlocks: 2
; VGPRBlocks: 18
; NumSGPRsForWavesPerEU: 23
; NumVGPRsForWavesPerEU: 150
; Occupancy: 6
; WaveLimiterHint : 1
; COMPUTE_PGM_RSRC2:SCRATCH_EN: 0
; COMPUTE_PGM_RSRC2:USER_SGPR: 6
; COMPUTE_PGM_RSRC2:TRAP_HANDLER: 0
; COMPUTE_PGM_RSRC2:TGID_X_EN: 1
; COMPUTE_PGM_RSRC2:TGID_Y_EN: 0
; COMPUTE_PGM_RSRC2:TGID_Z_EN: 0
; COMPUTE_PGM_RSRC2:TIDIG_COMP_CNT: 0
	.text
	.p2alignl 6, 3214868480
	.fill 48, 4, 3214868480
	.type	__hip_cuid_9ee5b96d2c00924d,@object ; @__hip_cuid_9ee5b96d2c00924d
	.section	.bss,"aw",@nobits
	.globl	__hip_cuid_9ee5b96d2c00924d
__hip_cuid_9ee5b96d2c00924d:
	.byte	0                               ; 0x0
	.size	__hip_cuid_9ee5b96d2c00924d, 1

	.ident	"AMD clang version 19.0.0git (https://github.com/RadeonOpenCompute/llvm-project roc-6.4.0 25133 c7fe45cf4b819c5991fe208aaa96edf142730f1d)"
	.section	".note.GNU-stack","",@progbits
	.addrsig
	.addrsig_sym __hip_cuid_9ee5b96d2c00924d
	.amdgpu_metadata
---
amdhsa.kernels:
  - .args:
      - .actual_access:  read_only
        .address_space:  global
        .offset:         0
        .size:           8
        .value_kind:     global_buffer
      - .offset:         8
        .size:           8
        .value_kind:     by_value
      - .actual_access:  read_only
        .address_space:  global
        .offset:         16
        .size:           8
        .value_kind:     global_buffer
      - .actual_access:  read_only
        .address_space:  global
        .offset:         24
        .size:           8
        .value_kind:     global_buffer
      - .offset:         32
        .size:           8
        .value_kind:     by_value
      - .actual_access:  read_only
        .address_space:  global
        .offset:         40
        .size:           8
        .value_kind:     global_buffer
      - .actual_access:  read_only
        .address_space:  global
        .offset:         48
        .size:           8
        .value_kind:     global_buffer
      - .offset:         56
        .size:           4
        .value_kind:     by_value
      - .actual_access:  read_only
        .address_space:  global
        .offset:         64
        .size:           8
        .value_kind:     global_buffer
      - .actual_access:  read_only
        .address_space:  global
        .offset:         72
        .size:           8
        .value_kind:     global_buffer
      - .address_space:  global
        .offset:         80
        .size:           8
        .value_kind:     global_buffer
    .group_segment_fixed_size: 0
    .kernarg_segment_align: 8
    .kernarg_segment_size: 88
    .language:       OpenCL C
    .language_version:
      - 2
      - 0
    .max_flat_workgroup_size: 198
    .name:           fft_rtc_fwd_len1188_factors_6_11_2_3_3_wgs_198_tpt_66_halfLds_half_ip_CI_unitstride_sbrr_R2C_dirReg
    .private_segment_fixed_size: 0
    .sgpr_count:     23
    .sgpr_spill_count: 0
    .symbol:         fft_rtc_fwd_len1188_factors_6_11_2_3_3_wgs_198_tpt_66_halfLds_half_ip_CI_unitstride_sbrr_R2C_dirReg.kd
    .uniform_work_group_size: 1
    .uses_dynamic_stack: false
    .vgpr_count:     150
    .vgpr_spill_count: 0
    .wavefront_size: 32
    .workgroup_processor_mode: 1
amdhsa.target:   amdgcn-amd-amdhsa--gfx1030
amdhsa.version:
  - 1
  - 2
...

	.end_amdgpu_metadata
